;; amdgpu-corpus repo=ROCm/rocFFT kind=compiled arch=gfx1030 opt=O3
	.text
	.amdgcn_target "amdgcn-amd-amdhsa--gfx1030"
	.amdhsa_code_object_version 6
	.protected	bluestein_single_fwd_len1512_dim1_half_op_CI_CI ; -- Begin function bluestein_single_fwd_len1512_dim1_half_op_CI_CI
	.globl	bluestein_single_fwd_len1512_dim1_half_op_CI_CI
	.p2align	8
	.type	bluestein_single_fwd_len1512_dim1_half_op_CI_CI,@function
bluestein_single_fwd_len1512_dim1_half_op_CI_CI: ; @bluestein_single_fwd_len1512_dim1_half_op_CI_CI
; %bb.0:
	s_load_dwordx4 s[8:11], s[4:5], 0x28
	v_mul_u32_u24_e32 v1, 0x411, v0
	v_mov_b32_e32 v17, 0
	s_mov_b32 s0, exec_lo
	v_lshrrev_b32_e32 v1, 16, v1
	v_add_nc_u32_e32 v16, s6, v1
	s_waitcnt lgkmcnt(0)
	v_cmpx_gt_u64_e64 s[8:9], v[16:17]
	s_cbranch_execz .LBB0_10
; %bb.1:
	s_clause 0x1
	s_load_dwordx4 s[0:3], s[4:5], 0x18
	s_load_dwordx4 s[12:15], s[4:5], 0x0
	v_mul_lo_u16 v1, v1, 63
	v_sub_nc_u16 v2, v0, v1
	v_and_b32_e32 v111, 0xffff, v2
	v_lshlrev_b32_e32 v89, 2, v111
	v_add_nc_u32_e32 v117, 0x2b5, v111
	v_add_co_u32 v116, null, 0xbd, v111
	s_waitcnt lgkmcnt(0)
	s_load_dwordx4 s[16:19], s[0:1], 0x0
	v_add_co_u32 v15, s0, s12, v89
	v_add_co_ci_u32_e64 v19, null, s13, 0, s0
	v_add_nc_u32_e32 v70, 0x200, v89
	v_add_nc_u32_e32 v200, 0x400, v89
	;; [unrolled: 1-line block ×8, first 2 shown]
	v_lshlrev_b32_e32 v23, 1, v111
	v_lshlrev_b32_e32 v115, 3, v111
	v_add_nc_u32_e32 v201, 0x237, v111
	v_lshlrev_b32_e32 v197, 3, v116
	v_and_b32_e32 v55, 1, v116
	v_lshlrev_b32_e32 v53, 2, v23
	v_add_nc_u32_e32 v202, 0x276, v111
	s_waitcnt lgkmcnt(0)
	v_mad_u64_u32 v[0:1], null, s18, v16, 0
	v_mad_u64_u32 v[3:4], null, s16, v111, 0
	s_mul_i32 s1, s17, 0xbd0
	s_mul_hi_u32 s7, s16, 0xbd0
	s_mul_i32 s0, s16, 0xbd0
	s_add_i32 s1, s7, s1
	v_mad_u64_u32 v[5:6], null, s19, v16, v[1:2]
	v_add_co_u32 v6, vcc_lo, 0x800, v15
	v_add_co_ci_u32_e32 v7, vcc_lo, 0, v19, vcc_lo
	s_mul_hi_u32 s9, s16, 0xfffff52c
	s_mul_i32 s8, s17, 0xfffff52c
	v_mad_u64_u32 v[8:9], null, s17, v111, v[4:5]
	v_mov_b32_e32 v1, v5
	s_mul_i32 s6, s16, 0xfffff52c
	s_sub_i32 s7, s9, s16
	s_clause 0x1
	global_load_dword v114, v89, s[12:13]
	global_load_dword v113, v[6:7], off offset:976
	s_add_i32 s7, s7, s8
	v_lshlrev_b64 v[0:1], 2, v[0:1]
	v_mov_b32_e32 v4, v8
	v_add_co_u32 v5, null, 0x13b, v111
	v_add_nc_u32_e32 v203, 0x3f0, v23
	v_lshlrev_b64 v[3:4], 2, v[3:4]
	v_add_co_u32 v0, vcc_lo, s10, v0
	v_add_co_ci_u32_e32 v1, vcc_lo, s11, v1, vcc_lo
	v_lshlrev_b32_e32 v195, 3, v5
	v_add_co_u32 v0, vcc_lo, v0, v3
	v_add_co_ci_u32_e32 v1, vcc_lo, v1, v4, vcc_lo
	v_and_b32_e32 v56, 1, v5
	v_add_co_u32 v3, vcc_lo, v0, s0
	v_add_co_ci_u32_e32 v4, vcc_lo, s1, v1, vcc_lo
	global_load_dword v8, v[0:1], off
	v_add_co_u32 v9, vcc_lo, v3, s6
	v_add_co_ci_u32_e32 v10, vcc_lo, s7, v4, vcc_lo
	global_load_dword v1, v[3:4], off
	;; [unrolled: 3-line block ×3, first 2 shown]
	s_clause 0x1
	global_load_dword v112, v89, s[12:13] offset:252
	global_load_dword v109, v89, s[12:13] offset:504
	global_load_dword v10, v[3:4], off
	v_add_co_u32 v3, vcc_lo, v3, s6
	v_add_co_ci_u32_e32 v4, vcc_lo, s7, v4, vcc_lo
	s_clause 0x1
	global_load_dword v110, v[6:7], off offset:1228
	global_load_dword v108, v[6:7], off offset:1480
	v_add_co_u32 v11, vcc_lo, v3, s0
	v_add_co_ci_u32_e32 v12, vcc_lo, s1, v4, vcc_lo
	global_load_dword v14, v[3:4], off
	v_add_co_u32 v3, vcc_lo, v11, s6
	v_add_co_ci_u32_e32 v4, vcc_lo, s7, v12, vcc_lo
	global_load_dword v12, v[11:12], off
	v_add_co_u32 v17, vcc_lo, v3, s0
	v_add_co_ci_u32_e32 v18, vcc_lo, s1, v4, vcc_lo
	s_clause 0x2
	global_load_dword v107, v89, s[12:13] offset:756
	global_load_dword v105, v89, s[12:13] offset:1008
	global_load_dword v106, v[6:7], off offset:1732
	global_load_dword v13, v[3:4], off
	global_load_dword v11, v[17:18], off
	v_add_co_u32 v3, vcc_lo, v17, s6
	v_add_co_ci_u32_e32 v4, vcc_lo, s7, v18, vcc_lo
	v_add_co_u32 v33, vcc_lo, 0x1000, v15
	v_add_co_ci_u32_e32 v34, vcc_lo, 0, v19, vcc_lo
	global_load_dword v15, v[3:4], off
	v_add_co_u32 v3, vcc_lo, v3, s0
	v_add_co_ci_u32_e32 v4, vcc_lo, s1, v4, vcc_lo
	global_load_dword v104, v[6:7], off offset:1984
	v_add_co_u32 v19, vcc_lo, v3, s6
	v_add_co_ci_u32_e32 v20, vcc_lo, s7, v4, vcc_lo
	global_load_dword v18, v[3:4], off
	v_add_co_u32 v3, vcc_lo, v19, s0
	v_add_co_ci_u32_e32 v4, vcc_lo, s1, v20, vcc_lo
	global_load_dword v17, v[19:20], off
	s_clause 0x1
	global_load_dword v103, v89, s[12:13] offset:1260
	global_load_dword v102, v[33:34], off offset:188
	global_load_dword v19, v[3:4], off
	v_add_co_u32 v3, vcc_lo, v3, s6
	v_add_co_ci_u32_e32 v4, vcc_lo, s7, v4, vcc_lo
	global_load_dword v101, v89, s[12:13] offset:1512
	v_add_co_u32 v21, vcc_lo, v3, s0
	v_add_co_ci_u32_e32 v22, vcc_lo, s1, v4, vcc_lo
	global_load_dword v20, v[3:4], off
	v_add_co_u32 v3, vcc_lo, v21, s6
	v_add_co_ci_u32_e32 v4, vcc_lo, s7, v22, vcc_lo
	global_load_dword v99, v89, s[12:13] offset:1764
	global_load_dword v21, v[21:22], off
	global_load_dword v100, v[33:34], off offset:440
	global_load_dword v22, v[3:4], off
	v_add_co_u32 v3, vcc_lo, v3, s0
	v_add_co_ci_u32_e32 v4, vcc_lo, s1, v4, vcc_lo
	global_load_dword v98, v[33:34], off offset:692
	v_add_co_u32 v25, vcc_lo, v3, s6
	v_add_co_ci_u32_e32 v26, vcc_lo, s7, v4, vcc_lo
	global_load_dword v24, v[3:4], off
	v_add_co_u32 v3, vcc_lo, v25, s0
	v_add_co_ci_u32_e32 v4, vcc_lo, s1, v26, vcc_lo
	global_load_dword v97, v89, s[12:13] offset:2016
	global_load_dword v25, v[25:26], off
	s_clause 0x1
	global_load_dword v96, v[33:34], off offset:944
	global_load_dword v94, v[33:34], off offset:1196
	global_load_dword v26, v[3:4], off
	v_add_co_u32 v3, vcc_lo, v3, s6
	v_add_co_ci_u32_e32 v4, vcc_lo, s7, v4, vcc_lo
	s_clause 0x1
	global_load_dword v95, v[6:7], off offset:220
	global_load_dword v93, v[6:7], off offset:472
	v_add_co_u32 v29, vcc_lo, v3, s0
	v_add_co_ci_u32_e32 v30, vcc_lo, s1, v4, vcc_lo
	global_load_dword v28, v[3:4], off
	v_add_co_u32 v3, vcc_lo, v29, s6
	v_add_co_ci_u32_e32 v4, vcc_lo, s7, v30, vcc_lo
	global_load_dword v27, v[29:30], off
	;; [unrolled: 3-line block ×4, first 2 shown]
	v_add_co_u32 v35, vcc_lo, v3, s0
	v_add_co_ci_u32_e32 v36, vcc_lo, s1, v4, vcc_lo
	global_load_dword v92, v[33:34], off offset:1448
	global_load_dword v31, v[3:4], off
	global_load_dword v32, v[35:36], off
	s_clause 0x1
	global_load_dword v91, v[6:7], off offset:724
	global_load_dword v90, v[33:34], off offset:1700
	v_add_nc_u32_e32 v36, 0xc00, v89
	v_add_nc_u32_e32 v35, 0x1000, v89
	s_load_dwordx4 s[8:11], s[2:3], 0x0
	v_add_co_u32 v0, s0, v111, 63
	v_add_co_u32 v3, null, 0x7e, v111
	v_add_co_u32 v4, null, 0xfc, v111
	;; [unrolled: 1-line block ×4, first 2 shown]
	v_and_b32_e32 v33, 1, v111
	v_lshlrev_b32_e32 v199, 3, v0
	v_lshlrev_b32_e32 v198, 3, v3
	;; [unrolled: 1-line block ×6, first 2 shown]
	v_add_co_ci_u32_e64 v37, null, 0, 0, s0
	v_cmp_gt_u16_e32 vcc_lo, 9, v2
	s_load_dwordx2 s[2:3], s[4:5], 0x38
	s_waitcnt vmcnt(45)
	v_lshrrev_b32_e32 v34, 16, v8
	v_mul_f16_sdwa v38, v114, v8 dst_sel:DWORD dst_unused:UNUSED_PAD src0_sel:WORD_1 src1_sel:DWORD
	v_mul_f16_sdwa v39, v114, v34 dst_sel:DWORD dst_unused:UNUSED_PAD src0_sel:WORD_1 src1_sel:DWORD
	s_waitcnt vmcnt(44)
	v_lshrrev_b32_e32 v40, 16, v1
	v_mul_f16_sdwa v43, v113, v1 dst_sel:DWORD dst_unused:UNUSED_PAD src0_sel:WORD_1 src1_sel:DWORD
	v_fma_f16 v34, v114, v34, -v38
	s_waitcnt vmcnt(43)
	v_lshrrev_b32_e32 v38, 16, v9
	v_fmac_f16_e32 v39, v114, v8
	v_mul_f16_sdwa v8, v113, v40 dst_sel:DWORD dst_unused:UNUSED_PAD src0_sel:WORD_1 src1_sel:DWORD
	v_fma_f16 v40, v113, v40, -v43
	s_waitcnt vmcnt(42)
	v_mul_f16_sdwa v43, v112, v9 dst_sel:DWORD dst_unused:UNUSED_PAD src0_sel:WORD_1 src1_sel:DWORD
	s_waitcnt vmcnt(39)
	v_mul_f16_sdwa v44, v110, v10 dst_sel:DWORD dst_unused:UNUSED_PAD src0_sel:WORD_1 src1_sel:DWORD
	v_pack_b32_f16 v34, v39, v34
	v_fmac_f16_e32 v8, v113, v1
	v_mul_f16_sdwa v1, v112, v38 dst_sel:DWORD dst_unused:UNUSED_PAD src0_sel:WORD_1 src1_sel:DWORD
	v_lshrrev_b32_e32 v39, 16, v10
	v_fma_f16 v38, v112, v38, -v43
	s_waitcnt vmcnt(37)
	v_mul_f16_sdwa v43, v109, v14 dst_sel:DWORD dst_unused:UNUSED_PAD src0_sel:WORD_1 src1_sel:DWORD
	v_pack_b32_f16 v8, v8, v40
	v_fmac_f16_e32 v1, v112, v9
	v_mul_f16_sdwa v9, v110, v39 dst_sel:DWORD dst_unused:UNUSED_PAD src0_sel:WORD_1 src1_sel:DWORD
	v_lshrrev_b32_e32 v40, 16, v14
	v_fma_f16 v39, v110, v39, -v44
	ds_write_b32 v89, v8 offset:3024
	v_pack_b32_f16 v1, v1, v38
	v_fmac_f16_e32 v9, v110, v10
	v_mul_f16_sdwa v8, v109, v40 dst_sel:DWORD dst_unused:UNUSED_PAD src0_sel:WORD_1 src1_sel:DWORD
	s_waitcnt vmcnt(36)
	v_lshrrev_b32_e32 v38, 16, v12
	v_fma_f16 v10, v109, v40, -v43
	v_mul_f16_sdwa v40, v108, v12 dst_sel:DWORD dst_unused:UNUSED_PAD src0_sel:WORD_1 src1_sel:DWORD
	ds_write2_b32 v89, v34, v1 offset1:63
	v_pack_b32_f16 v1, v9, v39
	v_fmac_f16_e32 v8, v109, v14
	v_mul_f16_sdwa v9, v108, v38 dst_sel:DWORD dst_unused:UNUSED_PAD src0_sel:WORD_1 src1_sel:DWORD
	s_waitcnt vmcnt(32)
	v_lshrrev_b32_e32 v14, 16, v13
	v_fma_f16 v34, v108, v38, -v40
	v_mul_f16_sdwa v38, v107, v13 dst_sel:DWORD dst_unused:UNUSED_PAD src0_sel:WORD_1 src1_sel:DWORD
	v_pack_b32_f16 v8, v8, v10
	v_fmac_f16_e32 v9, v108, v12
	v_mul_f16_sdwa v10, v107, v14 dst_sel:DWORD dst_unused:UNUSED_PAD src0_sel:WORD_1 src1_sel:DWORD
	s_waitcnt vmcnt(31)
	v_lshrrev_b32_e32 v12, 16, v11
	v_mul_f16_sdwa v39, v106, v11 dst_sel:DWORD dst_unused:UNUSED_PAD src0_sel:WORD_1 src1_sel:DWORD
	v_fma_f16 v14, v107, v14, -v38
	v_pack_b32_f16 v9, v9, v34
	v_fmac_f16_e32 v10, v107, v13
	v_mul_f16_sdwa v13, v106, v12 dst_sel:DWORD dst_unused:UNUSED_PAD src0_sel:WORD_1 src1_sel:DWORD
	s_waitcnt vmcnt(30)
	v_lshrrev_b32_e32 v34, 16, v15
	v_fma_f16 v12, v106, v12, -v39
	v_mul_f16_sdwa v38, v105, v15 dst_sel:DWORD dst_unused:UNUSED_PAD src0_sel:WORD_1 src1_sel:DWORD
	ds_write2_b32 v36, v1, v9 offset0:51 offset1:114
	v_pack_b32_f16 v1, v10, v14
	v_fmac_f16_e32 v13, v106, v11
	v_mul_f16_sdwa v9, v105, v34 dst_sel:DWORD dst_unused:UNUSED_PAD src0_sel:WORD_1 src1_sel:DWORD
	s_waitcnt vmcnt(28)
	v_lshrrev_b32_e32 v11, 16, v18
	v_fma_f16 v10, v105, v34, -v38
	v_mul_f16_sdwa v14, v104, v18 dst_sel:DWORD dst_unused:UNUSED_PAD src0_sel:WORD_1 src1_sel:DWORD
	ds_write2_b32 v89, v8, v1 offset0:126 offset1:189
	v_pack_b32_f16 v1, v13, v12
	v_fmac_f16_e32 v9, v105, v15
	v_mul_f16_sdwa v8, v104, v11 dst_sel:DWORD dst_unused:UNUSED_PAD src0_sel:WORD_1 src1_sel:DWORD
	s_waitcnt vmcnt(27)
	v_lshrrev_b32_e32 v12, 16, v17
	v_fma_f16 v11, v104, v11, -v14
	s_waitcnt vmcnt(26)
	v_mul_f16_sdwa v13, v103, v17 dst_sel:DWORD dst_unused:UNUSED_PAD src0_sel:WORD_1 src1_sel:DWORD
	v_pack_b32_f16 v9, v9, v10
	v_fmac_f16_e32 v8, v104, v18
	v_mul_f16_sdwa v10, v103, v12 dst_sel:DWORD dst_unused:UNUSED_PAD src0_sel:WORD_1 src1_sel:DWORD
	s_waitcnt vmcnt(24)
	v_lshrrev_b32_e32 v14, 16, v19
	v_mul_f16_sdwa v15, v102, v19 dst_sel:DWORD dst_unused:UNUSED_PAD src0_sel:WORD_1 src1_sel:DWORD
	v_fma_f16 v12, v103, v12, -v13
	v_pack_b32_f16 v8, v8, v11
	v_fmac_f16_e32 v10, v103, v17
	v_mul_f16_sdwa v11, v102, v14 dst_sel:DWORD dst_unused:UNUSED_PAD src0_sel:WORD_1 src1_sel:DWORD
	v_fma_f16 v13, v102, v14, -v15
	s_waitcnt vmcnt(22)
	v_lshrrev_b32_e32 v14, 16, v20
	v_mul_f16_sdwa v15, v101, v20 dst_sel:DWORD dst_unused:UNUSED_PAD src0_sel:WORD_1 src1_sel:DWORD
	ds_write2_b32 v36, v1, v8 offset0:177 offset1:240
	v_pack_b32_f16 v1, v10, v12
	v_fmac_f16_e32 v11, v102, v19
	v_mul_f16_sdwa v8, v101, v14 dst_sel:DWORD dst_unused:UNUSED_PAD src0_sel:WORD_1 src1_sel:DWORD
	s_waitcnt vmcnt(20)
	v_lshrrev_b32_e32 v12, 16, v21
	v_fma_f16 v10, v101, v14, -v15
	s_waitcnt vmcnt(19)
	v_mul_f16_sdwa v14, v100, v21 dst_sel:DWORD dst_unused:UNUSED_PAD src0_sel:WORD_1 src1_sel:DWORD
	ds_write2_b32 v70, v9, v1 offset0:124 offset1:187
	v_pack_b32_f16 v1, v11, v13
	v_fmac_f16_e32 v8, v101, v20
	v_mul_f16_sdwa v9, v100, v12 dst_sel:DWORD dst_unused:UNUSED_PAD src0_sel:WORD_1 src1_sel:DWORD
	s_waitcnt vmcnt(18)
	v_lshrrev_b32_e32 v11, 16, v22
	v_fma_f16 v12, v100, v12, -v14
	v_mul_f16_sdwa v13, v99, v22 dst_sel:DWORD dst_unused:UNUSED_PAD src0_sel:WORD_1 src1_sel:DWORD
	v_pack_b32_f16 v8, v8, v10
	v_fmac_f16_e32 v9, v100, v21
	v_mul_f16_sdwa v10, v99, v11 dst_sel:DWORD dst_unused:UNUSED_PAD src0_sel:WORD_1 src1_sel:DWORD
	s_waitcnt vmcnt(16)
	v_lshrrev_b32_e32 v14, 16, v24
	v_mul_f16_sdwa v15, v98, v24 dst_sel:DWORD dst_unused:UNUSED_PAD src0_sel:WORD_1 src1_sel:DWORD
	v_fma_f16 v11, v99, v11, -v13
	v_pack_b32_f16 v9, v9, v12
	v_fmac_f16_e32 v10, v99, v22
	v_mul_f16_sdwa v12, v98, v14 dst_sel:DWORD dst_unused:UNUSED_PAD src0_sel:WORD_1 src1_sel:DWORD
	v_fma_f16 v13, v98, v14, -v15
	s_waitcnt vmcnt(14)
	v_lshrrev_b32_e32 v14, 16, v25
	v_mul_f16_sdwa v15, v97, v25 dst_sel:DWORD dst_unused:UNUSED_PAD src0_sel:WORD_1 src1_sel:DWORD
	ds_write2_b32 v35, v1, v9 offset0:47 offset1:110
	v_pack_b32_f16 v1, v10, v11
	v_fmac_f16_e32 v12, v98, v24
	v_mul_f16_sdwa v9, v97, v14 dst_sel:DWORD dst_unused:UNUSED_PAD src0_sel:WORD_1 src1_sel:DWORD
	s_waitcnt vmcnt(11)
	v_lshrrev_b32_e32 v11, 16, v26
	v_fma_f16 v10, v97, v14, -v15
	v_mul_f16_sdwa v14, v96, v26 dst_sel:DWORD dst_unused:UNUSED_PAD src0_sel:WORD_1 src1_sel:DWORD
	ds_write2_b32 v200, v8, v1 offset0:122 offset1:185
	v_pack_b32_f16 v1, v12, v13
	v_fmac_f16_e32 v9, v97, v25
	v_mul_f16_sdwa v8, v96, v11 dst_sel:DWORD dst_unused:UNUSED_PAD src0_sel:WORD_1 src1_sel:DWORD
	s_waitcnt vmcnt(8)
	v_lshrrev_b32_e32 v12, 16, v28
	v_mul_f16_sdwa v13, v95, v28 dst_sel:DWORD dst_unused:UNUSED_PAD src0_sel:WORD_1 src1_sel:DWORD
	v_fma_f16 v11, v96, v11, -v14
	v_pack_b32_f16 v9, v9, v10
	v_fmac_f16_e32 v8, v96, v26
	v_mul_f16_sdwa v10, v95, v12 dst_sel:DWORD dst_unused:UNUSED_PAD src0_sel:WORD_1 src1_sel:DWORD
	v_fma_f16 v12, v95, v12, -v13
	s_waitcnt vmcnt(7)
	v_lshrrev_b32_e32 v13, 16, v27
	v_mul_f16_sdwa v14, v94, v27 dst_sel:DWORD dst_unused:UNUSED_PAD src0_sel:WORD_1 src1_sel:DWORD
	v_pack_b32_f16 v8, v8, v11
	v_fmac_f16_e32 v10, v95, v28
	s_waitcnt vmcnt(6)
	v_lshrrev_b32_e32 v11, 16, v29
	v_mul_f16_sdwa v15, v94, v13 dst_sel:DWORD dst_unused:UNUSED_PAD src0_sel:WORD_1 src1_sel:DWORD
	v_fma_f16 v13, v94, v13, -v14
	v_mul_f16_sdwa v14, v93, v29 dst_sel:DWORD dst_unused:UNUSED_PAD src0_sel:WORD_1 src1_sel:DWORD
	s_waitcnt vmcnt(5)
	v_lshrrev_b32_e32 v17, 16, v30
	v_pack_b32_f16 v10, v10, v12
	v_mul_f16_sdwa v12, v93, v11 dst_sel:DWORD dst_unused:UNUSED_PAD src0_sel:WORD_1 src1_sel:DWORD
	s_waitcnt vmcnt(3)
	v_lshrrev_b32_e32 v18, 16, v31
	v_fma_f16 v11, v93, v11, -v14
	v_mul_f16_sdwa v14, v92, v30 dst_sel:DWORD dst_unused:UNUSED_PAD src0_sel:WORD_1 src1_sel:DWORD
	s_waitcnt vmcnt(2)
	v_lshrrev_b32_e32 v20, 16, v32
	v_mul_f16_sdwa v19, v92, v17 dst_sel:DWORD dst_unused:UNUSED_PAD src0_sel:WORD_1 src1_sel:DWORD
	s_waitcnt vmcnt(1)
	v_mul_f16_sdwa v21, v91, v18 dst_sel:DWORD dst_unused:UNUSED_PAD src0_sel:WORD_1 src1_sel:DWORD
	s_waitcnt vmcnt(0)
	v_mul_f16_sdwa v22, v90, v32 dst_sel:DWORD dst_unused:UNUSED_PAD src0_sel:WORD_1 src1_sel:DWORD
	v_fma_f16 v14, v92, v17, -v14
	v_mul_f16_sdwa v17, v91, v31 dst_sel:DWORD dst_unused:UNUSED_PAD src0_sel:WORD_1 src1_sel:DWORD
	v_mul_f16_sdwa v24, v90, v20 dst_sel:DWORD dst_unused:UNUSED_PAD src0_sel:WORD_1 src1_sel:DWORD
	v_fmac_f16_e32 v15, v94, v27
	v_fmac_f16_e32 v12, v93, v29
	;; [unrolled: 1-line block ×3, first 2 shown]
	v_fma_f16 v17, v91, v18, -v17
	v_fmac_f16_e32 v21, v91, v31
	v_fma_f16 v18, v90, v20, -v22
	v_fmac_f16_e32 v24, v90, v32
	v_pack_b32_f16 v13, v15, v13
	v_pack_b32_f16 v11, v12, v11
	;; [unrolled: 1-line block ×5, first 2 shown]
	ds_write2_b32 v35, v1, v8 offset0:173 offset1:236
	ds_write2_b32 v73, v9, v10 offset0:120 offset1:183
	;; [unrolled: 1-line block ×4, first 2 shown]
	ds_write_b32 v89, v15 offset:5796
	s_waitcnt lgkmcnt(0)
	s_barrier
	buffer_gl0_inv
	ds_read2_b32 v[8:9], v89 offset1:63
	ds_read2_b32 v[10:11], v42 offset0:116 offset1:179
	ds_read2_b32 v[12:13], v89 offset0:126 offset1:189
	;; [unrolled: 1-line block ×11, first 2 shown]
	v_and_b32_e32 v1, 1, v117
	v_add_nc_u32_e32 v34, 0x1000, v115
	s_waitcnt lgkmcnt(0)
	s_barrier
	buffer_gl0_inv
	v_lshlrev_b32_e32 v57, 2, v1
	v_pk_add_f16 v40, v8, v10 neg_lo:[0,1] neg_hi:[0,1]
	v_pk_add_f16 v10, v9, v11 neg_lo:[0,1] neg_hi:[0,1]
	;; [unrolled: 1-line block ×12, first 2 shown]
	v_pk_fma_f16 v39, v8, 2.0, v40 op_sel_hi:[1,0,1] neg_lo:[0,0,1] neg_hi:[0,0,1]
	v_pk_fma_f16 v9, v9, 2.0, v10 op_sel_hi:[1,0,1] neg_lo:[0,0,1] neg_hi:[0,0,1]
	;; [unrolled: 1-line block ×12, first 2 shown]
	ds_write_b64 v115, v[39:40]
	ds_write_b64 v199, v[9:10]
	;; [unrolled: 1-line block ×8, first 2 shown]
	ds_write_b64 v53, v[49:50] offset:4032
	ds_write2_b64 v34, v[27:28], v[51:52] offset0:55 offset1:118
	ds_write_b64 v115, v[31:32] offset:5544
	v_and_b32_e32 v9, 1, v7
	v_and_b32_e32 v11, 1, v201
	v_lshlrev_b32_e32 v8, 2, v55
	s_waitcnt lgkmcnt(0)
	s_barrier
	buffer_gl0_inv
	s_clause 0x1
	global_load_dword v170, v54, s[14:15]
	global_load_dword v169, v57, s[14:15]
	v_lshlrev_b32_e32 v10, 2, v56
	v_lshlrev_b32_e32 v12, 2, v9
	;; [unrolled: 1-line block ×3, first 2 shown]
	v_and_b32_e32 v14, 1, v0
	s_clause 0x3
	global_load_ushort v184, v8, s[14:15] offset:2
	global_load_ushort v180, v10, s[14:15] offset:2
	;; [unrolled: 1-line block ×4, first 2 shown]
	v_lshlrev_b32_e32 v15, 2, v14
	s_clause 0x5
	global_load_ushort v171, v57, s[14:15] offset:2
	global_load_ushort v181, v10, s[14:15]
	global_load_ushort v186, v8, s[14:15]
	;; [unrolled: 1-line block ×5, first 2 shown]
	v_and_or_b32 v8, 0x7c, v23, v33
	v_lshlrev_b32_e32 v38, 1, v0
	v_lshlrev_b32_e32 v39, 1, v3
	;; [unrolled: 1-line block ×10, first 2 shown]
	v_and_or_b32 v8, 0xfc, v38, v14
	v_and_or_b32 v10, 0x1fc, v39, v33
	;; [unrolled: 1-line block ×10, first 2 shown]
	v_lshlrev_b32_e32 v191, 2, v8
	v_lshlrev_b32_e32 v190, 2, v10
	ds_read2_b32 v[8:9], v42 offset0:116 offset1:179
	ds_read2_b32 v[10:11], v89 offset1:63
	v_lshlrev_b32_e32 v188, 2, v12
	v_lshlrev_b32_e32 v187, 2, v13
	;; [unrolled: 1-line block ×4, first 2 shown]
	ds_read2_b32 v[12:13], v36 offset0:114 offset1:177
	ds_read2_b32 v[14:15], v89 offset0:126 offset1:189
	v_lshlrev_b32_e32 v182, 2, v17
	v_lshlrev_b32_e32 v179, 2, v18
	;; [unrolled: 1-line block ×4, first 2 shown]
	ds_read2_b32 v[17:18], v72 offset0:112 offset1:175
	ds_read2_b32 v[19:20], v70 offset0:124 offset1:187
	;; [unrolled: 1-line block ×8, first 2 shown]
	v_lshlrev_b32_e32 v49, 1, v117
	v_and_b32_e32 v34, 3, v111
	v_and_b32_e32 v52, 3, v201
	;; [unrolled: 1-line block ×4, first 2 shown]
	v_and_or_b32 v1, 0x5fc, v49, v1
	v_lshlrev_b32_e32 v50, 2, v34
	s_waitcnt lgkmcnt(11)
	v_lshrrev_b32_e32 v59, 16, v9
	s_waitcnt lgkmcnt(10)
	v_lshrrev_b32_e32 v58, 16, v10
	v_lshrrev_b32_e32 v60, 16, v11
	v_lshlrev_b32_e32 v172, 2, v1
	v_lshrrev_b32_e32 v1, 16, v8
	s_waitcnt lgkmcnt(9)
	v_lshrrev_b32_e32 v61, 16, v12
	v_lshrrev_b32_e32 v63, 16, v13
	s_waitcnt lgkmcnt(8)
	v_lshrrev_b32_e32 v62, 16, v14
	s_waitcnt lgkmcnt(4)
	v_lshrrev_b32_e32 v74, 16, v24
	v_lshrrev_b32_e32 v76, 16, v25
	;; [unrolled: 1-line block ×4, first 2 shown]
	s_waitcnt lgkmcnt(2)
	v_lshrrev_b32_e32 v78, 16, v28
	v_lshrrev_b32_e32 v80, 16, v29
	s_waitcnt lgkmcnt(0)
	v_lshrrev_b32_e32 v82, 16, v32
	v_lshrrev_b32_e32 v84, 16, v33
	;; [unrolled: 1-line block ×11, first 2 shown]
	v_and_b32_e32 v53, 3, v6
	v_and_b32_e32 v54, 3, v5
	s_waitcnt vmcnt(0)
	s_barrier
	buffer_gl0_inv
	v_lshlrev_b32_e32 v56, 2, v52
	v_lshlrev_b32_e32 v55, 2, v51
	v_mul_f16_sdwa v86, v8, v170 dst_sel:DWORD dst_unused:UNUSED_PAD src0_sel:DWORD src1_sel:WORD_1
	v_mul_f16_sdwa v87, v1, v170 dst_sel:DWORD dst_unused:UNUSED_PAD src0_sel:DWORD src1_sel:WORD_1
	;; [unrolled: 1-line block ×6, first 2 shown]
	v_mul_f16_e32 v121, v63, v184
	v_mul_f16_e32 v122, v13, v184
	v_mul_f16_sdwa v123, v17, v170 dst_sel:DWORD dst_unused:UNUSED_PAD src0_sel:DWORD src1_sel:WORD_1
	v_mul_f16_sdwa v124, v65, v170 dst_sel:DWORD dst_unused:UNUSED_PAD src0_sel:DWORD src1_sel:WORD_1
	v_mul_f16_e32 v125, v67, v180
	v_mul_f16_e32 v126, v18, v180
	v_mul_f16_sdwa v127, v24, v170 dst_sel:DWORD dst_unused:UNUSED_PAD src0_sel:DWORD src1_sel:WORD_1
	v_mul_f16_sdwa v128, v74, v170 dst_sel:DWORD dst_unused:UNUSED_PAD src0_sel:DWORD src1_sel:WORD_1
	v_mul_f16_e32 v129, v76, v176
	v_mul_f16_e32 v130, v25, v176
	v_mul_f16_sdwa v131, v28, v170 dst_sel:DWORD dst_unused:UNUSED_PAD src0_sel:DWORD src1_sel:WORD_1
	v_mul_f16_sdwa v132, v78, v170 dst_sel:DWORD dst_unused:UNUSED_PAD src0_sel:DWORD src1_sel:WORD_1
	v_mul_f16_e32 v133, v80, v173
	v_mul_f16_e32 v134, v29, v173
	v_mul_f16_sdwa v135, v32, v170 dst_sel:DWORD dst_unused:UNUSED_PAD src0_sel:DWORD src1_sel:WORD_1
	v_mul_f16_sdwa v136, v82, v170 dst_sel:DWORD dst_unused:UNUSED_PAD src0_sel:DWORD src1_sel:WORD_1
	v_mul_f16_e32 v137, v84, v171
	v_mul_f16_e32 v138, v33, v171
	v_fmac_f16_e32 v86, v1, v170
	v_fma_f16 v1, v8, v170, -v87
	v_fma_f16 v8, v9, v189, -v88
	v_fmac_f16_e32 v118, v59, v189
	v_fmac_f16_e32 v119, v61, v170
	v_fma_f16 v9, v12, v170, -v120
	v_fma_f16 v12, v13, v186, -v121
	v_fmac_f16_e32 v122, v63, v186
	;; [unrolled: 4-line block ×6, first 2 shown]
	v_sub_f16_e32 v33, v58, v86
	v_sub_f16_e32 v1, v10, v1
	;; [unrolled: 1-line block ×24, first 2 shown]
	v_fma_f16 v58, v58, 2.0, -v33
	v_pack_b32_f16 v33, v1, v33
	v_fma_f16 v1, v10, 2.0, -v1
	v_fma_f16 v10, v11, 2.0, -v8
	;; [unrolled: 1-line block ×3, first 2 shown]
	v_pack_b32_f16 v8, v8, v59
	v_fma_f16 v59, v62, 2.0, -v61
	v_pack_b32_f16 v60, v9, v61
	v_fma_f16 v9, v14, 2.0, -v9
	v_fma_f16 v14, v15, 2.0, -v12
	;; [unrolled: 1-line block ×4, first 2 shown]
	v_pack_b32_f16 v62, v13, v65
	v_fma_f16 v13, v19, 2.0, -v13
	v_pack_b32_f16 v12, v12, v63
	v_fma_f16 v19, v20, 2.0, -v17
	v_fma_f16 v20, v68, 2.0, -v67
	v_pack_b32_f16 v17, v17, v67
	v_fma_f16 v63, v75, 2.0, -v74
	v_pack_b32_f16 v64, v18, v74
	v_fma_f16 v18, v21, 2.0, -v18
	v_fma_f16 v21, v22, 2.0, -v24
	v_fma_f16 v22, v77, 2.0, -v76
	v_fma_f16 v65, v79, 2.0, -v78
	v_pack_b32_f16 v66, v25, v78
	v_fma_f16 v25, v26, 2.0, -v25
	v_fma_f16 v26, v27, 2.0, -v28
	v_fma_f16 v27, v81, 2.0, -v80
	;; [unrolled: 5-line block ×3, first 2 shown]
	v_pack_b32_f16 v1, v1, v58
	v_pack_b32_f16 v10, v10, v11
	;; [unrolled: 1-line block ×15, first 2 shown]
	ds_write2_b32 v192, v1, v33 offset1:2
	ds_write2_b32 v191, v10, v8 offset1:2
	;; [unrolled: 1-line block ×12, first 2 shown]
	v_and_b32_e32 v8, 3, v7
	v_lshlrev_b32_e32 v1, 2, v57
	s_waitcnt lgkmcnt(0)
	s_barrier
	buffer_gl0_inv
	s_clause 0x2
	global_load_dword v146, v50, s[14:15] offset:8
	global_load_dword v142, v55, s[14:15] offset:8
	global_load_ushort v145, v55, s[14:15] offset:10
	v_lshlrev_b32_e32 v9, 2, v54
	v_lshlrev_b32_e32 v10, 2, v53
	;; [unrolled: 1-line block ×3, first 2 shown]
	global_load_dword v144, v56, s[14:15] offset:8
	v_and_b32_e32 v13, 3, v3
	v_and_b32_e32 v12, 3, v0
	s_clause 0x3
	global_load_dword v141, v1, s[14:15] offset:8
	global_load_ushort v155, v9, s[14:15] offset:10
	global_load_ushort v153, v10, s[14:15] offset:10
	;; [unrolled: 1-line block ×3, first 2 shown]
	v_and_b32_e32 v14, 3, v116
	global_load_ushort v147, v56, s[14:15] offset:10
	v_lshlrev_b32_e32 v17, 2, v13
	v_lshlrev_b32_e32 v15, 2, v12
	v_and_or_b32 v19, 0x5f8, v48, v51
	v_lshlrev_b32_e32 v18, 2, v14
	s_clause 0x6
	global_load_ushort v143, v1, s[14:15] offset:10
	global_load_ushort v163, v17, s[14:15] offset:8
	;; [unrolled: 1-line block ×7, first 2 shown]
	v_and_or_b32 v9, 0x78, v23, v34
	v_and_or_b32 v10, 0x1f8, v39, v13
	;; [unrolled: 1-line block ×5, first 2 shown]
	v_lshlrev_b32_e32 v168, 2, v9
	v_and_or_b32 v9, 0xf8, v38, v12
	v_and_or_b32 v12, 0x3f8, v43, v34
	;; [unrolled: 1-line block ×6, first 2 shown]
	v_lshlrev_b32_e32 v167, 2, v9
	v_lshlrev_b32_e32 v165, 2, v10
	;; [unrolled: 1-line block ×3, first 2 shown]
	ds_read2_b32 v[8:9], v42 offset0:116 offset1:179
	ds_read2_b32 v[10:11], v89 offset1:63
	v_lshlrev_b32_e32 v162, 2, v12
	v_lshlrev_b32_e32 v160, 2, v13
	;; [unrolled: 1-line block ×4, first 2 shown]
	ds_read2_b32 v[12:13], v36 offset0:114 offset1:177
	ds_read2_b32 v[14:15], v89 offset0:126 offset1:189
	v_lshlrev_b32_e32 v154, 2, v17
	v_lshlrev_b32_e32 v151, 2, v18
	;; [unrolled: 1-line block ×3, first 2 shown]
	ds_read2_b32 v[17:18], v72 offset0:112 offset1:175
	ds_read2_b32 v[19:20], v70 offset0:124 offset1:187
	v_lshlrev_b32_e32 v148, 2, v21
	ds_read2_b32 v[21:22], v200 offset0:122 offset1:185
	ds_read2_b32 v[23:24], v35 offset0:110 offset1:173
	ds_read2_b32 v[25:26], v73 offset0:120 offset1:183
	ds_read2_b32 v[27:28], v71 offset0:108 offset1:171
	ds_read2_b32 v[29:30], v69 offset0:118 offset1:181
	ds_read2_b32 v[31:32], v41 offset0:106 offset1:169
	v_and_b32_e32 v1, 7, v111
	v_and_b32_e32 v74, 7, v3
	;; [unrolled: 1-line block ×4, first 2 shown]
	s_waitcnt vmcnt(0) lgkmcnt(0)
	v_lshlrev_b32_e32 v33, 3, v1
	s_barrier
	v_lshrrev_b32_e32 v38, 16, v8
	v_lshrrev_b32_e32 v40, 16, v9
	;; [unrolled: 1-line block ×4, first 2 shown]
	buffer_gl0_inv
	v_lshrrev_b32_e32 v44, 16, v12
	v_lshrrev_b32_e32 v46, 16, v13
	;; [unrolled: 1-line block ×20, first 2 shown]
	v_lshlrev_b32_e32 v34, 3, v50
	v_mul_f16_sdwa v65, v8, v146 dst_sel:DWORD dst_unused:UNUSED_PAD src0_sel:DWORD src1_sel:WORD_1
	v_mul_f16_sdwa v66, v38, v146 dst_sel:DWORD dst_unused:UNUSED_PAD src0_sel:DWORD src1_sel:WORD_1
	;; [unrolled: 1-line block ×11, first 2 shown]
	v_mul_f16_e32 v82, v51, v155
	v_mul_f16_e32 v83, v18, v155
	v_mul_f16_e32 v84, v23, v153
	v_mul_f16_e32 v85, v53, v153
	v_mul_f16_e32 v86, v55, v150
	v_mul_f16_e32 v87, v24, v150
	v_mul_f16_sdwa v118, v57, v146 dst_sel:DWORD dst_unused:UNUSED_PAD src0_sel:DWORD src1_sel:WORD_1
	v_mul_f16_e32 v119, v59, v147
	v_mul_f16_e32 v120, v28, v147
	;; [unrolled: 1-line block ×6, first 2 shown]
	v_fma_f16 v8, v8, v146, -v66
	v_fmac_f16_e32 v65, v38, v146
	v_fma_f16 v9, v9, v166, -v67
	v_fmac_f16_e32 v68, v40, v166
	;; [unrolled: 2-line block ×4, first 2 shown]
	v_fmac_f16_e32 v80, v48, v146
	v_fma_f16 v17, v17, v146, -v81
	v_fma_f16 v18, v18, v159, -v82
	v_fmac_f16_e32 v83, v51, v159
	v_fmac_f16_e32 v84, v53, v156
	v_fma_f16 v23, v23, v156, -v85
	v_fma_f16 v24, v24, v152, -v86
	v_fmac_f16_e32 v87, v55, v152
	;; [unrolled: 4-line block ×4, first 2 shown]
	v_sub_f16_e32 v38, v39, v65
	v_sub_f16_e32 v8, v10, v8
	;; [unrolled: 1-line block ×24, first 2 shown]
	v_fma_f16 v39, v39, 2.0, -v38
	v_pack_b32_f16 v38, v8, v38
	v_fma_f16 v8, v10, 2.0, -v8
	v_fma_f16 v10, v11, 2.0, -v9
	;; [unrolled: 1-line block ×3, first 2 shown]
	v_pack_b32_f16 v9, v9, v40
	v_fma_f16 v40, v45, 2.0, -v44
	v_pack_b32_f16 v43, v12, v44
	v_fma_f16 v12, v14, 2.0, -v12
	v_fma_f16 v14, v15, 2.0, -v13
	;; [unrolled: 1-line block ×4, first 2 shown]
	v_pack_b32_f16 v45, v17, v48
	v_fma_f16 v17, v19, 2.0, -v17
	v_pack_b32_f16 v13, v13, v46
	v_fma_f16 v19, v20, 2.0, -v18
	v_fma_f16 v20, v52, 2.0, -v51
	v_pack_b32_f16 v18, v18, v51
	v_fma_f16 v46, v54, 2.0, -v53
	v_pack_b32_f16 v47, v23, v53
	v_fma_f16 v21, v21, 2.0, -v23
	v_fma_f16 v22, v22, 2.0, -v24
	v_fma_f16 v23, v56, 2.0, -v55
	v_fma_f16 v48, v58, 2.0, -v57
	v_pack_b32_f16 v49, v27, v57
	v_fma_f16 v25, v25, 2.0, -v27
	v_fma_f16 v26, v26, 2.0, -v28
	v_fma_f16 v27, v60, 2.0, -v59
	v_fma_f16 v51, v62, 2.0, -v61
	v_pack_b32_f16 v52, v31, v61
	v_fma_f16 v29, v29, 2.0, -v31
	v_fma_f16 v30, v30, 2.0, -v32
	v_fma_f16 v31, v64, 2.0, -v63
	v_pack_b32_f16 v8, v8, v39
	v_pack_b32_f16 v10, v10, v11
	;; [unrolled: 1-line block ×15, first 2 shown]
	ds_write2_b32 v168, v8, v38 offset1:4
	ds_write2_b32 v167, v10, v9 offset1:4
	;; [unrolled: 1-line block ×12, first 2 shown]
	v_lshlrev_b32_e32 v8, 3, v74
	v_and_b32_e32 v13, 7, v4
	v_lshlrev_b32_e32 v9, 3, v75
	v_and_b32_e32 v14, 7, v5
	s_waitcnt lgkmcnt(0)
	s_barrier
	buffer_gl0_inv
	s_clause 0x3
	global_load_dwordx2 v[67:68], v33, s[14:15] offset:24
	global_load_dwordx2 v[65:66], v34, s[14:15] offset:24
	global_load_dwordx2 v[63:64], v8, s[14:15] offset:24
	global_load_dwordx2 v[61:62], v9, s[14:15] offset:24
	v_lshlrev_b32_e32 v8, 3, v13
	v_and_b32_e32 v15, 7, v6
	v_lshlrev_b32_e32 v9, 3, v14
	v_and_b32_e32 v17, 7, v7
	s_clause 0x1
	global_load_dwordx2 v[59:60], v8, s[14:15] offset:24
	global_load_dwordx2 v[57:58], v9, s[14:15] offset:24
	v_lshlrev_b32_e32 v8, 3, v15
	v_lshlrev_b32_e32 v9, 3, v17
	s_clause 0x1
	global_load_dwordx2 v[55:56], v8, s[14:15] offset:24
	global_load_dwordx2 v[53:54], v9, s[14:15] offset:24
	v_and_b32_e32 v8, 0xff, v2
	v_lshrrev_b32_e32 v9, 3, v111
	v_mov_b32_e32 v10, 0xaaab
	v_lshrrev_b32_e32 v11, 3, v0
	v_lshrrev_b32_e32 v12, 3, v3
	v_mul_lo_u16 v8, 0xab, v8
	v_mul_u32_u24_e32 v9, 24, v9
	v_lshrrev_b32_e32 v18, 3, v116
	v_lshrrev_b32_e32 v19, 3, v4
	;; [unrolled: 1-line block ×5, first 2 shown]
	v_and_b32_e32 v23, 0xff, v0
	v_lshrrev_b16 v38, 12, v8
	v_and_b32_e32 v32, 0xff, v3
	v_mul_u32_u24_sdwa v24, v4, v10 dst_sel:DWORD dst_unused:UNUSED_PAD src0_sel:WORD_0 src1_sel:DWORD
	v_mul_u32_u24_sdwa v25, v5, v10 dst_sel:DWORD dst_unused:UNUSED_PAD src0_sel:WORD_0 src1_sel:DWORD
	;; [unrolled: 1-line block ×4, first 2 shown]
	v_and_b32_e32 v8, 0xff, v116
	v_or_b32_e32 v1, v9, v1
	v_mul_u32_u24_e32 v28, 24, v11
	v_mul_u32_u24_e32 v29, 24, v12
	;; [unrolled: 1-line block ×7, first 2 shown]
	v_mul_lo_u16 v23, 0xab, v23
	v_mul_lo_u16 v30, v38, 24
	;; [unrolled: 1-line block ×3, first 2 shown]
	v_lshrrev_b32_e32 v9, 20, v24
	v_lshrrev_b32_e32 v10, 20, v25
	;; [unrolled: 1-line block ×4, first 2 shown]
	v_mul_lo_u16 v33, 0xab, v8
	v_or_b32_e32 v24, v28, v50
	v_or_b32_e32 v25, v29, v74
	;; [unrolled: 1-line block ×7, first 2 shown]
	v_lshlrev_b32_e32 v135, 2, v1
	v_lshrrev_b16 v15, 12, v23
	v_sub_nc_u16 v1, v2, v30
	v_lshrrev_b16 v17, 12, v31
	v_mul_lo_u16 v22, v9, 24
	v_mul_lo_u16 v23, v10, 24
	v_mul_lo_u16 v27, v11, 24
	v_mul_lo_u16 v28, v12, 24
	v_lshrrev_b16 v18, 12, v33
	v_lshlrev_b32_e32 v130, 2, v25
	v_lshlrev_b32_e32 v129, 2, v26
	v_and_b32_e32 v21, 0xff, v1
	v_mul_lo_u16 v1, v17, 24
	v_sub_nc_u16 v22, v4, v22
	v_sub_nc_u16 v25, v5, v23
	;; [unrolled: 1-line block ×4, first 2 shown]
	v_lshlrev_b32_e32 v128, 2, v13
	v_mul_lo_u16 v13, v18, 24
	v_lshlrev_b32_e32 v134, 2, v24
	v_lshlrev_b32_e32 v126, 2, v19
	;; [unrolled: 1-line block ×3, first 2 shown]
	v_sub_nc_u16 v1, v3, v1
	v_lshlrev_b16 v19, 3, v22
	v_lshlrev_b16 v20, 3, v25
	;; [unrolled: 1-line block ×4, first 2 shown]
	v_mul_lo_u16 v29, v15, 24
	v_sub_nc_u16 v27, v116, v13
	v_and_b32_e32 v13, 0xff, v1
	v_and_b32_e32 v1, 0xffff, v19
	;; [unrolled: 1-line block ×4, first 2 shown]
	ds_read2_b32 v[19:20], v73 offset0:120 offset1:183
	v_and_b32_e32 v80, 0xffff, v24
	ds_read2_b32 v[23:24], v72 offset0:112 offset1:175
	v_lshlrev_b32_e32 v127, 2, v14
	v_sub_nc_u16 v14, v0, v29
	v_and_b32_e32 v47, 0xff, v27
	ds_read2_b32 v[27:28], v69 offset0:118 offset1:181
	ds_read2_b32 v[29:30], v35 offset0:110 offset1:173
	;; [unrolled: 1-line block ×5, first 2 shown]
	ds_read2_b32 v[45:46], v89 offset1:63
	ds_read2_b32 v[48:49], v89 offset0:126 offset1:189
	ds_read2_b32 v[50:51], v41 offset0:106 offset1:169
	;; [unrolled: 1-line block ×4, first 2 shown]
	v_and_b32_e32 v14, 0xff, v14
	s_waitcnt vmcnt(0) lgkmcnt(0)
	s_barrier
	buffer_gl0_inv
	v_lshlrev_b32_e32 v52, 3, v21
	v_lshlrev_b32_e32 v82, 3, v13
	;; [unrolled: 1-line block ×4, first 2 shown]
	v_mul_lo_u16 v32, v32, 57
	v_mad_u16 v10, 0x48, v10, v25
	v_lshrrev_b32_e32 v84, 16, v19
	v_lshrrev_b32_e32 v85, 16, v20
	;; [unrolled: 1-line block ×24, first 2 shown]
	v_mad_u16 v11, 0x48, v11, v26
	v_mad_u16 v9, 0x48, v9, v22
	;; [unrolled: 1-line block ×3, first 2 shown]
	v_mul_f16_sdwa v208, v84, v67 dst_sel:DWORD dst_unused:UNUSED_PAD src0_sel:DWORD src1_sel:WORD_1
	v_mul_f16_sdwa v209, v85, v65 dst_sel:DWORD dst_unused:UNUSED_PAD src0_sel:DWORD src1_sel:WORD_1
	v_mul_f16_sdwa v210, v19, v67 dst_sel:DWORD dst_unused:UNUSED_PAD src0_sel:DWORD src1_sel:WORD_1
	v_mul_f16_sdwa v211, v20, v65 dst_sel:DWORD dst_unused:UNUSED_PAD src0_sel:DWORD src1_sel:WORD_1
	v_mul_f16_sdwa v212, v86, v68 dst_sel:DWORD dst_unused:UNUSED_PAD src0_sel:DWORD src1_sel:WORD_1
	v_mul_f16_sdwa v213, v87, v66 dst_sel:DWORD dst_unused:UNUSED_PAD src0_sel:DWORD src1_sel:WORD_1
	v_mul_f16_sdwa v214, v24, v66 dst_sel:DWORD dst_unused:UNUSED_PAD src0_sel:DWORD src1_sel:WORD_1
	v_mul_f16_sdwa v215, v23, v68 dst_sel:DWORD dst_unused:UNUSED_PAD src0_sel:DWORD src1_sel:WORD_1
	v_mul_f16_sdwa v216, v88, v63 dst_sel:DWORD dst_unused:UNUSED_PAD src0_sel:DWORD src1_sel:WORD_1
	v_mul_f16_sdwa v218, v27, v63 dst_sel:DWORD dst_unused:UNUSED_PAD src0_sel:DWORD src1_sel:WORD_1
	v_mul_f16_sdwa v219, v28, v61 dst_sel:DWORD dst_unused:UNUSED_PAD src0_sel:DWORD src1_sel:WORD_1
	v_mul_f16_sdwa v220, v119, v64 dst_sel:DWORD dst_unused:UNUSED_PAD src0_sel:DWORD src1_sel:WORD_1
	v_mul_f16_sdwa v222, v30, v62 dst_sel:DWORD dst_unused:UNUSED_PAD src0_sel:DWORD src1_sel:WORD_1
	v_mul_f16_sdwa v223, v29, v64 dst_sel:DWORD dst_unused:UNUSED_PAD src0_sel:DWORD src1_sel:WORD_1
	v_mul_f16_sdwa v217, v118, v61 dst_sel:DWORD dst_unused:UNUSED_PAD src0_sel:DWORD src1_sel:WORD_1
	v_mul_f16_sdwa v221, v120, v62 dst_sel:DWORD dst_unused:UNUSED_PAD src0_sel:DWORD src1_sel:WORD_1
	v_mul_f16_sdwa v224, v121, v59 dst_sel:DWORD dst_unused:UNUSED_PAD src0_sel:DWORD src1_sel:WORD_1
	v_mul_f16_sdwa v225, v122, v57 dst_sel:DWORD dst_unused:UNUSED_PAD src0_sel:DWORD src1_sel:WORD_1
	v_mul_f16_sdwa v226, v33, v59 dst_sel:DWORD dst_unused:UNUSED_PAD src0_sel:DWORD src1_sel:WORD_1
	v_mul_f16_sdwa v227, v34, v57 dst_sel:DWORD dst_unused:UNUSED_PAD src0_sel:DWORD src1_sel:WORD_1
	v_mul_f16_sdwa v228, v123, v60 dst_sel:DWORD dst_unused:UNUSED_PAD src0_sel:DWORD src1_sel:WORD_1
	v_mul_f16_sdwa v229, v124, v58 dst_sel:DWORD dst_unused:UNUSED_PAD src0_sel:DWORD src1_sel:WORD_1
	v_mul_f16_sdwa v230, v40, v58 dst_sel:DWORD dst_unused:UNUSED_PAD src0_sel:DWORD src1_sel:WORD_1
	v_mul_f16_sdwa v231, v39, v60 dst_sel:DWORD dst_unused:UNUSED_PAD src0_sel:DWORD src1_sel:WORD_1
	v_mul_f16_sdwa v232, v131, v55 dst_sel:DWORD dst_unused:UNUSED_PAD src0_sel:DWORD src1_sel:WORD_1
	v_mul_f16_sdwa v233, v132, v53 dst_sel:DWORD dst_unused:UNUSED_PAD src0_sel:DWORD src1_sel:WORD_1
	v_mul_f16_sdwa v234, v43, v55 dst_sel:DWORD dst_unused:UNUSED_PAD src0_sel:DWORD src1_sel:WORD_1
	v_mul_f16_sdwa v235, v44, v53 dst_sel:DWORD dst_unused:UNUSED_PAD src0_sel:DWORD src1_sel:WORD_1
	v_mul_f16_sdwa v236, v138, v56 dst_sel:DWORD dst_unused:UNUSED_PAD src0_sel:DWORD src1_sel:WORD_1
	v_mul_f16_sdwa v237, v139, v54 dst_sel:DWORD dst_unused:UNUSED_PAD src0_sel:DWORD src1_sel:WORD_1
	v_mul_f16_sdwa v238, v51, v54 dst_sel:DWORD dst_unused:UNUSED_PAD src0_sel:DWORD src1_sel:WORD_1
	v_mul_f16_sdwa v239, v50, v56 dst_sel:DWORD dst_unused:UNUSED_PAD src0_sel:DWORD src1_sel:WORD_1
	v_fma_f16 v19, v19, v67, -v208
	v_fma_f16 v20, v20, v65, -v209
	v_fma_f16 v23, v23, v68, -v212
	v_fma_f16 v24, v24, v66, -v213
	v_fmac_f16_e32 v211, v85, v65
	v_fmac_f16_e32 v214, v87, v66
	;; [unrolled: 1-line block ×4, first 2 shown]
	v_fma_f16 v27, v27, v63, -v216
	v_fma_f16 v29, v29, v64, -v220
	v_fmac_f16_e32 v219, v118, v61
	v_fmac_f16_e32 v222, v120, v62
	;; [unrolled: 1-line block ×4, first 2 shown]
	v_fma_f16 v28, v28, v61, -v217
	v_fma_f16 v30, v30, v62, -v221
	;; [unrolled: 1-line block ×8, first 2 shown]
	v_fmac_f16_e32 v227, v122, v57
	v_fmac_f16_e32 v230, v124, v58
	;; [unrolled: 1-line block ×4, first 2 shown]
	v_fma_f16 v50, v50, v56, -v236
	v_fma_f16 v51, v51, v54, -v237
	v_fmac_f16_e32 v235, v132, v53
	v_fmac_f16_e32 v238, v139, v54
	;; [unrolled: 1-line block ×4, first 2 shown]
	v_add_f16_e32 v84, v20, v24
	v_add_f16_e32 v86, v211, v214
	v_add_f16_e32 v118, v19, v23
	v_add_f16_e32 v119, v45, v19
	v_add_f16_e32 v120, v136, v210
	v_add_f16_e32 v121, v210, v215
	v_add_f16_e32 v85, v46, v20
	v_add_f16_e32 v87, v133, v211
	v_add_f16_e32 v131, v219, v222
	v_add_f16_e32 v138, v27, v29
	v_add_f16_e32 v139, v48, v27
	v_add_f16_e32 v208, v140, v218
	v_add_f16_e32 v209, v218, v223
	v_sub_f16_e32 v88, v211, v214
	v_sub_f16_e32 v20, v20, v24
	;; [unrolled: 1-line block ×4, first 2 shown]
	v_add_f16_e32 v123, v28, v30
	v_add_f16_e32 v124, v49, v28
	;; [unrolled: 1-line block ×3, first 2 shown]
	v_sub_f16_e32 v210, v218, v223
	v_add_f16_e32 v211, v34, v40
	v_sub_f16_e32 v212, v219, v222
	v_add_f16_e32 v213, v75, v34
	v_add_f16_e32 v216, v227, v230
	;; [unrolled: 1-line block ×7, first 2 shown]
	v_sub_f16_e32 v224, v226, v231
	v_add_f16_e32 v226, v44, v51
	v_add_f16_e32 v228, v235, v238
	;; [unrolled: 1-line block ×6, first 2 shown]
	v_fmac_f16_e32 v46, -0.5, v84
	v_fmac_f16_e32 v133, -0.5, v86
	v_add_f16_e32 v23, v119, v23
	v_add_f16_e32 v84, v120, v215
	v_fmac_f16_e32 v136, -0.5, v121
	v_fma_f16 v45, -0.5, v118, v45
	v_sub_f16_e32 v225, v227, v230
	v_add_f16_e32 v227, v77, v44
	v_add_f16_e32 v229, v206, v235
	v_sub_f16_e32 v27, v27, v29
	v_sub_f16_e32 v28, v28, v30
	v_add_f16_e32 v24, v85, v24
	v_add_f16_e32 v85, v87, v214
	v_fmac_f16_e32 v137, -0.5, v131
	v_add_f16_e32 v29, v139, v29
	v_add_f16_e32 v86, v208, v223
	v_fmac_f16_e32 v140, -0.5, v209
	v_fma_f16 v48, -0.5, v138, v48
	v_sub_f16_e32 v33, v33, v39
	v_sub_f16_e32 v34, v34, v40
	;; [unrolled: 1-line block ×6, first 2 shown]
	v_fmac_f16_e32 v49, -0.5, v123
	v_add_f16_e32 v30, v124, v30
	v_add_f16_e32 v87, v132, v222
	v_fmac_f16_e32 v75, -0.5, v211
	v_fmac_f16_e32 v204, -0.5, v216
	v_add_f16_e32 v39, v218, v39
	v_add_f16_e32 v119, v220, v231
	v_fmac_f16_e32 v205, -0.5, v221
	v_add_f16_e32 v40, v213, v40
	v_add_f16_e32 v120, v217, v230
	v_fmac_f16_e32 v77, -0.5, v226
	v_fmac_f16_e32 v206, -0.5, v228
	v_add_f16_e32 v50, v232, v50
	v_add_f16_e32 v118, v236, v239
	v_fmac_f16_e32 v207, -0.5, v237
	v_fma_f16 v74, -0.5, v219, v74
	v_fma_f16 v76, -0.5, v233, v76
	v_fmamk_f16 v123, v88, 0x3aee, v46
	v_fmac_f16_e32 v46, 0xbaee, v88
	v_fmamk_f16 v88, v20, 0xbaee, v133
	v_fmac_f16_e32 v133, 0x3aee, v20
	v_pack_b32_f16 v20, v23, v84
	v_fmamk_f16 v23, v122, 0x3aee, v45
	v_fmamk_f16 v84, v19, 0xbaee, v136
	v_fmac_f16_e32 v45, 0xbaee, v122
	v_fmac_f16_e32 v136, 0x3aee, v19
	v_add_f16_e32 v51, v227, v51
	v_add_f16_e32 v121, v229, v238
	v_pack_b32_f16 v19, v24, v85
	v_fmamk_f16 v85, v28, 0xbaee, v137
	v_fmac_f16_e32 v137, 0x3aee, v28
	v_pack_b32_f16 v28, v29, v86
	v_fmamk_f16 v29, v210, 0x3aee, v48
	v_fmamk_f16 v86, v27, 0xbaee, v140
	;; [unrolled: 1-line block ×3, first 2 shown]
	v_fmac_f16_e32 v49, 0xbaee, v212
	v_fmac_f16_e32 v48, 0xbaee, v210
	;; [unrolled: 1-line block ×3, first 2 shown]
	v_pack_b32_f16 v27, v30, v87
	v_fmamk_f16 v30, v225, 0x3aee, v75
	v_fmac_f16_e32 v75, 0xbaee, v225
	v_fmamk_f16 v87, v34, 0xbaee, v204
	v_fmac_f16_e32 v204, 0x3aee, v34
	v_pack_b32_f16 v34, v39, v119
	v_fmamk_f16 v39, v224, 0x3aee, v74
	v_fmac_f16_e32 v74, 0xbaee, v224
	v_fmamk_f16 v119, v33, 0xbaee, v205
	v_fmac_f16_e32 v205, 0x3aee, v33
	;; [unrolled: 5-line block ×4, first 2 shown]
	v_pack_b32_f16 v23, v23, v84
	v_pack_b32_f16 v45, v45, v136
	;; [unrolled: 1-line block ×17, first 2 shown]
	ds_write2_b32 v135, v20, v23 offset1:8
	ds_write_b32 v135, v45 offset:64
	ds_write2_b32 v134, v19, v51 offset1:8
	ds_write_b32 v134, v46 offset:64
	;; [unrolled: 2-line block ×8, first 2 shown]
	v_add_co_u32 v19, s0, s14, v1
	v_add_co_ci_u32_e64 v20, null, s15, 0, s0
	v_add_co_u32 v23, s0, s14, v78
	v_add_co_ci_u32_e64 v24, null, s15, 0, s0
	v_add_co_u32 v48, s0, s14, v79
	s_waitcnt lgkmcnt(0)
	s_barrier
	buffer_gl0_inv
	s_clause 0x3
	global_load_dwordx2 v[45:46], v52, s[14:15] offset:88
	global_load_dwordx2 v[43:44], v81, s[14:15] offset:88
	global_load_dwordx2 v[39:40], v82, s[14:15] offset:88
	global_load_dwordx2 v[33:34], v83, s[14:15] offset:88
	v_add_co_ci_u32_e64 v49, null, s15, 0, s0
	s_clause 0x1
	global_load_dwordx2 v[29:30], v[19:20], off offset:88
	global_load_dwordx2 v[27:28], v[23:24], off offset:88
	v_add_co_u32 v19, s0, s14, v80
	v_add_co_ci_u32_e64 v20, null, s15, 0, s0
	s_clause 0x1
	global_load_dwordx2 v[23:24], v[48:49], off offset:88
	global_load_dwordx2 v[19:20], v[19:20], off offset:88
	v_add_co_u32 v1, s0, v111, -9
	v_add_co_ci_u32_e64 v48, null, 0, -1, s0
	v_mov_b32_e32 v49, 0xe38f
	v_cndmask_b32_e32 v0, v1, v0, vcc_lo
	v_mul_lo_u16 v77, 0x48, v38
	v_cndmask_b32_e32 v1, v48, v37, vcc_lo
	v_mov_b32_e32 v50, 0x48
	v_mul_u32_u24_sdwa v48, v4, v49 dst_sel:DWORD dst_unused:UNUSED_PAD src0_sel:WORD_0 src1_sel:DWORD
	v_mul_u32_u24_sdwa v51, v5, v49 dst_sel:DWORD dst_unused:UNUSED_PAD src0_sel:WORD_0 src1_sel:DWORD
	;; [unrolled: 1-line block ×4, first 2 shown]
	v_lshlrev_b64 v[37:38], 3, v[0:1]
	v_lshrrev_b32_e32 v1, 22, v48
	v_lshrrev_b32_e32 v75, 22, v51
	;; [unrolled: 1-line block ×4, first 2 shown]
	v_mul_lo_u16 v49, v8, 57
	v_and_b32_e32 v51, 0xf8, v77
	v_mul_lo_u16 v52, 0x48, v1
	v_lshrrev_b16 v8, 12, v32
	v_mul_lo_u16 v32, 0x48, v75
	v_lshrrev_b16 v77, 12, v49
	v_mov_b32_e32 v74, 2
	v_sub_nc_u16 v4, v4, v52
	v_mul_u32_u24_sdwa v15, v15, v50 dst_sel:DWORD dst_unused:UNUSED_PAD src0_sel:WORD_0 src1_sel:DWORD
	v_sub_nc_u16 v5, v5, v32
	v_mul_lo_u16 v32, 0x48, v77
	v_mul_u32_u24_sdwa v17, v17, v50 dst_sel:DWORD dst_unused:UNUSED_PAD src0_sel:WORD_0 src1_sel:DWORD
	v_mul_u32_u24_sdwa v18, v18, v50 dst_sel:DWORD dst_unused:UNUSED_PAD src0_sel:WORD_0 src1_sel:DWORD
	v_add_lshl_u32 v139, v51, v21, 2
	v_lshlrev_b16 v22, 3, v4
	v_sub_nc_u16 v21, v116, v32
	v_mul_lo_u16 v78, 0x48, v76
	v_mul_lo_u16 v48, 0x48, v48
	;; [unrolled: 1-line block ×3, first 2 shown]
	v_lshlrev_b16 v25, 3, v5
	v_lshlrev_b32_sdwa v133, v74, v10 dst_sel:DWORD dst_unused:UNUSED_PAD src0_sel:DWORD src1_sel:WORD_0
	v_lshlrev_b32_sdwa v132, v74, v11 dst_sel:DWORD dst_unused:UNUSED_PAD src0_sel:DWORD src1_sel:WORD_0
	ds_read2_b32 v[10:11], v73 offset0:120 offset1:183
	v_add_lshl_u32 v140, v15, v14, 2
	ds_read2_b32 v[14:15], v72 offset0:112 offset1:175
	v_lshlrev_b32_sdwa v136, v74, v9 dst_sel:DWORD dst_unused:UNUSED_PAD src0_sel:DWORD src1_sel:WORD_0
	v_and_b32_e32 v84, 0xffff, v22
	v_and_b32_e32 v9, 0xff, v21
	v_add_lshl_u32 v138, v17, v13, 2
	v_add_lshl_u32 v137, v18, v47, 2
	ds_read2_b32 v[17:18], v69 offset0:118 offset1:181
	ds_read2_b32 v[21:22], v35 offset0:110 offset1:173
	v_sub_nc_u16 v6, v6, v78
	v_sub_nc_u16 v7, v7, v48
	;; [unrolled: 1-line block ×3, first 2 shown]
	v_lshlrev_b32_sdwa v131, v74, v12 dst_sel:DWORD dst_unused:UNUSED_PAD src0_sel:DWORD src1_sel:WORD_0
	v_and_b32_e32 v85, 0xffff, v25
	ds_read2_b32 v[12:13], v89 offset1:63
	ds_read2_b32 v[25:26], v89 offset0:126 offset1:189
	ds_read2_b32 v[31:32], v70 offset0:124 offset1:187
	;; [unrolled: 1-line block ×7, first 2 shown]
	v_lshlrev_b16 v82, 3, v6
	v_and_b32_e32 v3, 0xff, v3
	s_waitcnt vmcnt(0) lgkmcnt(0)
	v_lshrrev_b32_e32 v88, 16, v10
	v_lshrrev_b32_e32 v118, 16, v11
	v_lshrrev_b32_e32 v119, 16, v14
	v_lshrrev_b32_e32 v120, 16, v15
	s_barrier
	buffer_gl0_inv
	v_lshlrev_b16 v83, 3, v7
	v_add_co_u32 v37, vcc_lo, s14, v37
	v_lshrrev_b32_e32 v123, 16, v17
	v_lshrrev_b32_e32 v204, 16, v21
	;; [unrolled: 1-line block ×20, first 2 shown]
	v_lshlrev_b32_e32 v86, 3, v3
	v_add_co_ci_u32_e32 v38, vcc_lo, s15, v38, vcc_lo
	v_lshlrev_b32_e32 v87, 3, v9
	v_cmp_lt_u16_e32 vcc_lo, 8, v2
	v_mad_u16 v6, 0xd8, v76, v6
	v_mul_f16_sdwa v220, v88, v45 dst_sel:DWORD dst_unused:UNUSED_PAD src0_sel:DWORD src1_sel:WORD_1
	v_mul_f16_sdwa v221, v118, v43 dst_sel:DWORD dst_unused:UNUSED_PAD src0_sel:DWORD src1_sel:WORD_1
	v_mul_f16_sdwa v222, v10, v45 dst_sel:DWORD dst_unused:UNUSED_PAD src0_sel:DWORD src1_sel:WORD_1
	v_mul_f16_sdwa v223, v11, v43 dst_sel:DWORD dst_unused:UNUSED_PAD src0_sel:DWORD src1_sel:WORD_1
	v_mul_f16_sdwa v224, v119, v46 dst_sel:DWORD dst_unused:UNUSED_PAD src0_sel:DWORD src1_sel:WORD_1
	v_mul_f16_sdwa v225, v120, v44 dst_sel:DWORD dst_unused:UNUSED_PAD src0_sel:DWORD src1_sel:WORD_1
	v_mul_f16_sdwa v226, v15, v44 dst_sel:DWORD dst_unused:UNUSED_PAD src0_sel:DWORD src1_sel:WORD_1
	v_mul_f16_sdwa v227, v14, v46 dst_sel:DWORD dst_unused:UNUSED_PAD src0_sel:DWORD src1_sel:WORD_1
	v_mul_f16_sdwa v228, v123, v39 dst_sel:DWORD dst_unused:UNUSED_PAD src0_sel:DWORD src1_sel:WORD_1
	v_mul_f16_sdwa v230, v17, v39 dst_sel:DWORD dst_unused:UNUSED_PAD src0_sel:DWORD src1_sel:WORD_1
	v_mul_f16_sdwa v231, v18, v33 dst_sel:DWORD dst_unused:UNUSED_PAD src0_sel:DWORD src1_sel:WORD_1
	v_mul_f16_sdwa v232, v204, v40 dst_sel:DWORD dst_unused:UNUSED_PAD src0_sel:DWORD src1_sel:WORD_1
	v_mul_f16_sdwa v234, v22, v34 dst_sel:DWORD dst_unused:UNUSED_PAD src0_sel:DWORD src1_sel:WORD_1
	v_mul_f16_sdwa v235, v21, v40 dst_sel:DWORD dst_unused:UNUSED_PAD src0_sel:DWORD src1_sel:WORD_1
	v_mul_f16_sdwa v229, v124, v33 dst_sel:DWORD dst_unused:UNUSED_PAD src0_sel:DWORD src1_sel:WORD_1
	v_mul_f16_sdwa v233, v205, v34 dst_sel:DWORD dst_unused:UNUSED_PAD src0_sel:DWORD src1_sel:WORD_1
	v_mul_f16_sdwa v236, v208, v29 dst_sel:DWORD dst_unused:UNUSED_PAD src0_sel:DWORD src1_sel:WORD_1
	v_mul_f16_sdwa v237, v209, v27 dst_sel:DWORD dst_unused:UNUSED_PAD src0_sel:DWORD src1_sel:WORD_1
	v_mul_f16_sdwa v238, v47, v29 dst_sel:DWORD dst_unused:UNUSED_PAD src0_sel:DWORD src1_sel:WORD_1
	v_mul_f16_sdwa v239, v48, v27 dst_sel:DWORD dst_unused:UNUSED_PAD src0_sel:DWORD src1_sel:WORD_1
	v_mul_f16_sdwa v240, v210, v30 dst_sel:DWORD dst_unused:UNUSED_PAD src0_sel:DWORD src1_sel:WORD_1
	v_mul_f16_sdwa v241, v211, v28 dst_sel:DWORD dst_unused:UNUSED_PAD src0_sel:DWORD src1_sel:WORD_1
	v_mul_f16_sdwa v242, v49, v30 dst_sel:DWORD dst_unused:UNUSED_PAD src0_sel:DWORD src1_sel:WORD_1
	v_mul_f16_sdwa v243, v50, v28 dst_sel:DWORD dst_unused:UNUSED_PAD src0_sel:DWORD src1_sel:WORD_1
	v_mul_f16_sdwa v244, v212, v23 dst_sel:DWORD dst_unused:UNUSED_PAD src0_sel:DWORD src1_sel:WORD_1
	v_mul_f16_sdwa v245, v213, v19 dst_sel:DWORD dst_unused:UNUSED_PAD src0_sel:DWORD src1_sel:WORD_1
	v_mul_f16_sdwa v246, v78, v23 dst_sel:DWORD dst_unused:UNUSED_PAD src0_sel:DWORD src1_sel:WORD_1
	v_mul_f16_sdwa v247, v79, v19 dst_sel:DWORD dst_unused:UNUSED_PAD src0_sel:DWORD src1_sel:WORD_1
	v_mul_f16_sdwa v248, v214, v24 dst_sel:DWORD dst_unused:UNUSED_PAD src0_sel:DWORD src1_sel:WORD_1
	v_mul_f16_sdwa v249, v215, v20 dst_sel:DWORD dst_unused:UNUSED_PAD src0_sel:DWORD src1_sel:WORD_1
	v_fma_f16 v10, v10, v45, -v220
	v_fma_f16 v11, v11, v43, -v221
	v_mul_f16_sdwa v220, v80, v24 dst_sel:DWORD dst_unused:UNUSED_PAD src0_sel:DWORD src1_sel:WORD_1
	v_mul_f16_sdwa v221, v81, v20 dst_sel:DWORD dst_unused:UNUSED_PAD src0_sel:DWORD src1_sel:WORD_1
	v_fma_f16 v14, v14, v46, -v224
	v_fma_f16 v15, v15, v44, -v225
	v_fmac_f16_e32 v223, v118, v43
	v_fmac_f16_e32 v226, v120, v44
	;; [unrolled: 1-line block ×4, first 2 shown]
	v_fma_f16 v17, v17, v39, -v228
	v_fma_f16 v21, v21, v40, -v232
	v_fmac_f16_e32 v231, v124, v33
	v_fmac_f16_e32 v234, v205, v34
	;; [unrolled: 1-line block ×4, first 2 shown]
	v_fma_f16 v18, v18, v33, -v229
	v_fma_f16 v22, v22, v34, -v233
	;; [unrolled: 1-line block ×10, first 2 shown]
	v_fmac_f16_e32 v238, v208, v29
	v_fmac_f16_e32 v242, v210, v30
	;; [unrolled: 1-line block ×8, first 2 shown]
	v_add_f16_e32 v88, v11, v15
	v_add_f16_e32 v119, v223, v226
	;; [unrolled: 1-line block ×8, first 2 shown]
	v_sub_f16_e32 v123, v223, v226
	v_sub_f16_e32 v209, v222, v227
	v_add_f16_e32 v212, v231, v234
	v_add_f16_e32 v215, v17, v21
	;; [unrolled: 1-line block ×5, first 2 shown]
	v_sub_f16_e32 v11, v11, v15
	v_sub_f16_e32 v10, v10, v14
	v_add_f16_e32 v210, v18, v22
	v_add_f16_e32 v211, v26, v18
	;; [unrolled: 1-line block ×3, first 2 shown]
	v_sub_f16_e32 v214, v231, v234
	v_sub_f16_e32 v225, v230, v235
	v_add_f16_e32 v228, v48, v50
	v_add_f16_e32 v229, v32, v48
	;; [unrolled: 1-line block ×9, first 2 shown]
	v_sub_f16_e32 v244, v247, v221
	v_add_f16_e32 v245, v78, v80
	v_add_f16_e32 v247, v51, v78
	;; [unrolled: 1-line block ×4, first 2 shown]
	v_fmac_f16_e32 v13, -0.5, v88
	v_add_f16_e32 v88, v219, v246
	v_fmac_f16_e32 v121, -0.5, v119
	v_add_f16_e32 v119, v246, v220
	v_add_f16_e32 v14, v124, v14
	;; [unrolled: 1-line block ×3, first 2 shown]
	v_fmac_f16_e32 v122, -0.5, v208
	v_fma_f16 v12, -0.5, v204, v12
	v_sub_f16_e32 v232, v239, v243
	v_add_f16_e32 v239, v52, v79
	v_sub_f16_e32 v18, v18, v22
	v_sub_f16_e32 v17, v17, v21
	v_add_f16_e32 v15, v118, v15
	v_add_f16_e32 v118, v120, v226
	v_fmac_f16_e32 v206, -0.5, v212
	v_fma_f16 v25, -0.5, v215, v25
	v_add_f16_e32 v21, v222, v21
	v_add_f16_e32 v120, v223, v235
	v_fmac_f16_e32 v207, -0.5, v224
	v_sub_f16_e32 v48, v48, v50
	v_sub_f16_e32 v79, v79, v81
	;; [unrolled: 1-line block ×6, first 2 shown]
	v_fmac_f16_e32 v26, -0.5, v210
	v_fmac_f16_e32 v32, -0.5, v228
	;; [unrolled: 1-line block ×3, first 2 shown]
	v_fma_f16 v31, -0.5, v233, v31
	v_fmac_f16_e32 v52, -0.5, v237
	v_fmac_f16_e32 v218, -0.5, v240
	v_fma_f16 v51, -0.5, v245, v51
	v_add_f16_e32 v22, v211, v22
	v_add_f16_e32 v204, v213, v234
	;; [unrolled: 1-line block ×4, first 2 shown]
	v_fmac_f16_e32 v217, -0.5, v249
	v_add_f16_e32 v50, v229, v50
	v_add_f16_e32 v208, v231, v243
	;; [unrolled: 1-line block ×4, first 2 shown]
	v_fmac_f16_e32 v219, -0.5, v119
	v_fmamk_f16 v210, v123, 0x3aee, v13
	v_fmac_f16_e32 v13, 0xbaee, v123
	v_fmamk_f16 v123, v11, 0xbaee, v121
	v_fmac_f16_e32 v121, 0x3aee, v11
	v_pack_b32_f16 v11, v14, v124
	v_fmamk_f16 v14, v209, 0x3aee, v12
	v_fmamk_f16 v124, v10, 0xbaee, v122
	v_fmac_f16_e32 v12, 0xbaee, v209
	v_fmac_f16_e32 v122, 0x3aee, v10
	v_add_f16_e32 v81, v239, v81
	v_add_f16_e32 v119, v241, v221
	v_pack_b32_f16 v10, v15, v118
	v_fmamk_f16 v118, v18, 0xbaee, v206
	v_fmac_f16_e32 v206, 0x3aee, v18
	v_pack_b32_f16 v18, v21, v120
	v_fmamk_f16 v21, v225, 0x3aee, v25
	v_fmamk_f16 v120, v17, 0xbaee, v207
	;; [unrolled: 1-line block ×3, first 2 shown]
	v_fmac_f16_e32 v26, 0xbaee, v214
	v_fmamk_f16 v209, v232, 0x3aee, v32
	v_fmac_f16_e32 v32, 0xbaee, v232
	v_fmamk_f16 v211, v48, 0xbaee, v216
	;; [unrolled: 2-line block ×4, first 2 shown]
	v_fmac_f16_e32 v218, 0x3aee, v79
	v_fmac_f16_e32 v25, 0xbaee, v225
	;; [unrolled: 1-line block ×3, first 2 shown]
	v_pack_b32_f16 v17, v22, v204
	v_pack_b32_f16 v22, v49, v205
	v_fmamk_f16 v49, v238, 0x3aee, v31
	v_fmac_f16_e32 v31, 0xbaee, v238
	v_fmamk_f16 v79, v47, 0xbaee, v217
	v_fmac_f16_e32 v217, 0x3aee, v47
	v_pack_b32_f16 v47, v50, v208
	v_pack_b32_f16 v50, v80, v88
	v_fmamk_f16 v80, v246, 0x3aee, v51
	v_fmac_f16_e32 v51, 0xbaee, v246
	v_fmamk_f16 v88, v78, 0xbaee, v219
	v_fmac_f16_e32 v219, 0x3aee, v78
	v_pack_b32_f16 v14, v14, v124
	v_pack_b32_f16 v12, v12, v122
	;; [unrolled: 1-line block ×17, first 2 shown]
	ds_write2_b32 v139, v11, v14 offset1:24
	ds_write_b32 v139, v12 offset:192
	ds_write2_b32 v140, v10, v81 offset1:24
	ds_write_b32 v140, v13 offset:192
	;; [unrolled: 2-line block ×8, first 2 shown]
	v_add_co_u32 v10, s0, s14, v84
	v_add_co_ci_u32_e64 v11, null, s15, 0, s0
	v_add_co_u32 v12, s0, s14, v85
	v_add_co_ci_u32_e64 v13, null, s15, 0, s0
	v_and_b32_e32 v14, 0xffff, v82
	v_and_b32_e32 v15, 0xffff, v83
	s_waitcnt lgkmcnt(0)
	s_barrier
	buffer_gl0_inv
	s_clause 0x5
	global_load_dwordx2 v[51:52], v115, s[14:15] offset:280
	global_load_dwordx2 v[49:50], v[37:38], off offset:280
	global_load_dwordx2 v[47:48], v86, s[14:15] offset:280
	global_load_dwordx2 v[37:38], v87, s[14:15] offset:280
	global_load_dwordx2 v[31:32], v[10:11], off offset:280
	global_load_dwordx2 v[25:26], v[12:13], off offset:280
	v_add_co_u32 v10, s0, s14, v14
	v_add_co_ci_u32_e64 v11, null, s15, 0, s0
	v_add_co_u32 v12, s0, s14, v15
	v_add_co_ci_u32_e64 v13, null, s15, 0, s0
	s_clause 0x1
	global_load_dwordx2 v[21:22], v[10:11], off offset:280
	global_load_dwordx2 v[17:18], v[12:13], off offset:280
	v_cndmask_b32_e64 v10, 0, 0xd8, vcc_lo
	v_mov_b32_e32 v11, 0xd8
	v_lshlrev_b32_sdwa v118, v74, v7 dst_sel:DWORD dst_unused:UNUSED_PAD src0_sel:DWORD src1_sel:WORD_0
	v_lshlrev_b32_sdwa v120, v74, v6 dst_sel:DWORD dst_unused:UNUSED_PAD src0_sel:DWORD src1_sel:WORD_0
	ds_read2_b32 v[6:7], v89 offset1:63
	v_add_lshl_u32 v123, v0, v10, 2
	v_mad_u16 v0, 0xd8, v1, v4
	v_mad_u16 v4, 0xd8, v75, v5
	v_mul_u32_u24_sdwa v8, v8, v11 dst_sel:DWORD dst_unused:UNUSED_PAD src0_sel:WORD_0 src1_sel:DWORD
	v_mul_u32_u24_sdwa v14, v77, v11 dst_sel:DWORD dst_unused:UNUSED_PAD src0_sel:WORD_0 src1_sel:DWORD
	ds_read2_b32 v[10:11], v69 offset0:118 offset1:181
	v_lshlrev_b32_sdwa v121, v74, v0 dst_sel:DWORD dst_unused:UNUSED_PAD src0_sel:DWORD src1_sel:WORD_0
	ds_read2_b32 v[0:1], v73 offset0:120 offset1:183
	v_lshlrev_b32_sdwa v119, v74, v4 dst_sel:DWORD dst_unused:UNUSED_PAD src0_sel:DWORD src1_sel:WORD_0
	ds_read2_b32 v[4:5], v72 offset0:112 offset1:175
	v_add_lshl_u32 v124, v8, v3, 2
	ds_read2_b32 v[12:13], v35 offset0:110 offset1:173
	v_add_lshl_u32 v122, v14, v9, 2
	ds_read2_b32 v[8:9], v89 offset0:126 offset1:189
	ds_read2_b32 v[14:15], v70 offset0:124 offset1:187
	;; [unrolled: 1-line block ×7, first 2 shown]
	v_add_nc_u32_e32 v81, 0x1400, v118
	s_waitcnt vmcnt(0) lgkmcnt(0)
	s_barrier
	buffer_gl0_inv
	v_cmp_gt_u16_e32 vcc_lo, 27, v2
	v_lshrrev_b32_e32 v86, 16, v6
	v_lshrrev_b32_e32 v85, 16, v7
	;; [unrolled: 1-line block ×24, first 2 shown]
	v_mul_f16_sdwa v220, v3, v51 dst_sel:DWORD dst_unused:UNUSED_PAD src0_sel:DWORD src1_sel:WORD_1
	v_mul_f16_sdwa v221, v82, v49 dst_sel:DWORD dst_unused:UNUSED_PAD src0_sel:DWORD src1_sel:WORD_1
	;; [unrolled: 1-line block ×31, first 2 shown]
	v_fma_f16 v0, v0, v51, -v220
	v_fma_f16 v1, v1, v49, -v221
	v_mul_f16_sdwa v220, v80, v18 dst_sel:DWORD dst_unused:UNUSED_PAD src0_sel:DWORD src1_sel:WORD_1
	v_fma_f16 v5, v5, v50, -v224
	v_fmac_f16_e32 v223, v82, v49
	v_fmac_f16_e32 v225, v84, v50
	v_fma_f16 v4, v4, v52, -v226
	v_fmac_f16_e32 v222, v3, v51
	v_fmac_f16_e32 v227, v83, v52
	v_fma_f16 v3, v10, v47, -v228
	v_fma_f16 v10, v11, v37, -v229
	;; [unrolled: 1-line block ×4, first 2 shown]
	v_fmac_f16_e32 v231, v88, v37
	v_fmac_f16_e32 v234, v206, v38
	;; [unrolled: 1-line block ×4, first 2 shown]
	v_fma_f16 v13, v73, v31, -v236
	v_fma_f16 v73, v74, v25, -v237
	;; [unrolled: 1-line block ×4, first 2 shown]
	v_fmac_f16_e32 v238, v209, v31
	v_fmac_f16_e32 v242, v211, v32
	;; [unrolled: 1-line block ×6, first 2 shown]
	v_fma_f16 v76, v77, v21, -v246
	v_fma_f16 v77, v79, v22, -v247
	v_fma_f16 v78, v78, v17, -v248
	v_fma_f16 v79, v80, v18, -v250
	v_fmac_f16_e32 v249, v218, v17
	v_fmac_f16_e32 v220, v219, v18
	v_add_f16_e32 v80, v1, v5
	v_add_f16_e32 v82, v223, v225
	;; [unrolled: 1-line block ×8, first 2 shown]
	v_sub_f16_e32 v209, v222, v227
	v_sub_f16_e32 v210, v223, v225
	v_add_f16_e32 v211, v10, v12
	v_add_f16_e32 v212, v9, v10
	;; [unrolled: 1-line block ×8, first 2 shown]
	v_sub_f16_e32 v224, v230, v235
	v_add_f16_e32 v226, v73, v75
	v_add_f16_e32 v228, v15, v73
	;; [unrolled: 1-line block ×11, first 2 shown]
	v_fmac_f16_e32 v7, -0.5, v80
	v_add_f16_e32 v80, v249, v220
	v_sub_f16_e32 v0, v0, v4
	v_sub_f16_e32 v1, v1, v5
	v_fmac_f16_e32 v85, -0.5, v82
	v_add_f16_e32 v4, v87, v4
	v_add_f16_e32 v82, v205, v227
	v_fmac_f16_e32 v86, -0.5, v206
	v_fma_f16 v6, -0.5, v88, v6
	v_add_f16_e32 v248, v71, v78
	v_sub_f16_e32 v218, v231, v234
	v_sub_f16_e32 v10, v10, v12
	;; [unrolled: 1-line block ×7, first 2 shown]
	v_add_f16_e32 v239, v217, v244
	v_sub_f16_e32 v240, v244, v245
	v_add_f16_e32 v244, v70, v76
	v_sub_f16_e32 v76, v76, v77
	;; [unrolled: 2-line block ×3, first 2 shown]
	v_sub_f16_e32 v78, v78, v79
	v_add_f16_e32 v5, v83, v5
	v_add_f16_e32 v83, v84, v225
	v_fmac_f16_e32 v9, -0.5, v211
	v_fmac_f16_e32 v207, -0.5, v215
	v_fma_f16 v8, -0.5, v219, v8
	v_add_f16_e32 v11, v221, v11
	v_add_f16_e32 v84, v222, v235
	v_fmac_f16_e32 v208, -0.5, v223
	v_add_f16_e32 v12, v212, v12
	v_add_f16_e32 v87, v216, v234
	v_fmac_f16_e32 v15, -0.5, v226
	v_fmac_f16_e32 v213, -0.5, v229
	v_fma_f16 v14, -0.5, v232, v14
	v_add_f16_e32 v88, v236, v242
	v_add_f16_e32 v74, v233, v74
	v_fmac_f16_e32 v214, -0.5, v237
	v_add_f16_e32 v206, v228, v75
	v_add_f16_e32 v211, v230, v243
	v_fmac_f16_e32 v217, -0.5, v241
	v_fma_f16 v70, -0.5, v246, v70
	v_fmac_f16_e32 v71, -0.5, v247
	v_fmac_f16_e32 v204, -0.5, v80
	v_fmamk_f16 v80, v1, 0xbaee, v85
	v_fmac_f16_e32 v85, 0x3aee, v1
	v_pack_b32_f16 v1, v4, v82
	v_fmamk_f16 v4, v209, 0x3aee, v6
	v_fmamk_f16 v82, v0, 0xbaee, v86
	v_fmac_f16_e32 v6, 0xbaee, v209
	v_fmac_f16_e32 v86, 0x3aee, v0
	v_add_f16_e32 v75, v248, v79
	v_fmamk_f16 v79, v210, 0x3aee, v7
	v_fmac_f16_e32 v7, 0xbaee, v210
	v_pack_b32_f16 v0, v5, v83
	v_fmamk_f16 v5, v218, 0x3aee, v9
	v_fmac_f16_e32 v9, 0xbaee, v218
	v_fmamk_f16 v83, v10, 0xbaee, v207
	v_fmac_f16_e32 v207, 0x3aee, v10
	v_pack_b32_f16 v10, v11, v84
	v_fmamk_f16 v11, v224, 0x3aee, v8
	v_fmamk_f16 v84, v3, 0xbaee, v208
	v_fmac_f16_e32 v8, 0xbaee, v224
	v_fmac_f16_e32 v208, 0x3aee, v3
	v_pack_b32_f16 v3, v12, v87
	v_fmamk_f16 v12, v231, 0x3aee, v15
	v_fmamk_f16 v87, v73, 0xbaee, v213
	v_fmac_f16_e32 v213, 0x3aee, v73
	v_pack_b32_f16 v73, v74, v88
	v_fmamk_f16 v74, v238, 0x3aee, v14
	v_fmamk_f16 v88, v13, 0xbaee, v214
	;; [unrolled: 4-line block ×3, first 2 shown]
	v_fmac_f16_e32 v70, 0xbaee, v240
	v_fmac_f16_e32 v217, 0x3aee, v76
	v_fmamk_f16 v76, v249, 0x3aee, v71
	v_fmamk_f16 v206, v78, 0xbaee, v204
	v_fmac_f16_e32 v71, 0xbaee, v249
	v_fmac_f16_e32 v204, 0x3aee, v78
	v_add_f16_e32 v212, v239, v245
	v_add_f16_e32 v77, v244, v77
	;; [unrolled: 1-line block ×3, first 2 shown]
	v_fmac_f16_e32 v15, 0xbaee, v231
	v_fmac_f16_e32 v14, 0xbaee, v238
	v_pack_b32_f16 v4, v4, v82
	v_pack_b32_f16 v6, v6, v86
	;; [unrolled: 1-line block ×18, first 2 shown]
	ds_write2_b32 v89, v1, v4 offset1:72
	ds_write_b32 v89, v6 offset:576
	ds_write2_b32 v123, v0, v78 offset1:72
	ds_write_b32 v123, v7 offset:576
	;; [unrolled: 2-line block ×7, first 2 shown]
	ds_write2_b32 v81, v211, v80 offset0:16 offset1:88
	ds_write_b32 v118, v82 offset:5760
	s_waitcnt lgkmcnt(0)
	s_barrier
	buffer_gl0_inv
	ds_read2_b32 v[79:80], v69 offset0:46 offset1:136
	ds_read2_b32 v[85:86], v36 offset0:96 offset1:159
	;; [unrolled: 1-line block ×5, first 2 shown]
	ds_read_b32 v212, v89 offset:5688
	ds_read2_b32 v[12:13], v89 offset1:63
	ds_read2_b32 v[8:9], v89 offset0:126 offset1:216
	ds_read2_b32 v[87:88], v200 offset0:176 offset1:239
	;; [unrolled: 1-line block ×4, first 2 shown]
                                        ; implicit-def: $vgpr211
                                        ; implicit-def: $vgpr208
                                        ; implicit-def: $vgpr207
                                        ; implicit-def: $vgpr209
                                        ; implicit-def: $vgpr210
                                        ; implicit-def: $vgpr72
                                        ; implicit-def: $vgpr78
	s_and_saveexec_b32 s0, vcc_lo
	s_cbranch_execz .LBB0_3
; %bb.2:
	v_add_nc_u32_e32 v0, 0x280, v89
	v_add_nc_u32_e32 v1, 0x980, v89
	ds_read2_b32 v[77:78], v35 offset0:29 offset1:245
	ds_read_b32 v207, v89 offset:5940
	ds_read2_b32 v[75:76], v0 offset0:29 offset1:245
	ds_read2_b32 v[71:72], v1 offset0:13 offset1:229
	s_waitcnt lgkmcnt(3)
	v_lshrrev_b32_e32 v210, 16, v77
	v_lshrrev_b32_e32 v208, 16, v78
	s_waitcnt lgkmcnt(2)
	v_lshrrev_b32_e32 v209, 16, v207
	s_waitcnt lgkmcnt(1)
	v_lshrrev_b32_e32 v205, 16, v75
	v_lshrrev_b32_e32 v206, 16, v76
	s_waitcnt lgkmcnt(0)
	v_lshrrev_b32_e32 v204, 16, v71
	v_lshrrev_b32_e32 v211, 16, v72
.LBB0_3:
	s_or_b32 exec_lo, exec_lo, s0
	v_mad_u64_u32 v[4:5], null, v111, 24, s[14:15]
	s_waitcnt lgkmcnt(2)
	v_lshrrev_b32_e32 v35, 16, v87
	v_lshrrev_b32_e32 v222, 16, v74
	;; [unrolled: 1-line block ×4, first 2 shown]
	s_clause 0x1
	global_load_dwordx4 v[0:3], v[4:5], off offset:856
	global_load_dwordx2 v[41:42], v[4:5], off offset:872
	v_add_co_u32 v6, s0, 0x5e8, v4
	v_add_co_ci_u32_e64 v7, s0, 0, v5, s0
	v_add_co_u32 v14, s0, 0xbd0, v4
	v_add_co_ci_u32_e64 v15, s0, 0, v5, s0
	s_waitcnt vmcnt(1)
	v_mul_f16_sdwa v215, v87, v1 dst_sel:DWORD dst_unused:UNUSED_PAD src0_sel:DWORD src1_sel:WORD_1
	v_mul_f16_sdwa v213, v35, v1 dst_sel:DWORD dst_unused:UNUSED_PAD src0_sel:DWORD src1_sel:WORD_1
	;; [unrolled: 1-line block ×3, first 2 shown]
	s_waitcnt vmcnt(0)
	v_mul_f16_sdwa v221, v73, v42 dst_sel:DWORD dst_unused:UNUSED_PAD src0_sel:DWORD src1_sel:WORD_1
	v_mul_f16_sdwa v223, v9, v0 dst_sel:DWORD dst_unused:UNUSED_PAD src0_sel:DWORD src1_sel:WORD_1
	v_fmac_f16_e32 v215, v35, v1
	s_clause 0x1
	global_load_dwordx2 v[35:36], v[6:7], off offset:872
	global_load_dwordx4 v[4:7], v[6:7], off offset:856
	v_fma_f16 v217, v87, v1, -v213
	v_lshrrev_b32_e32 v213, 16, v85
	v_mul_f16_sdwa v224, v11, v41 dst_sel:DWORD dst_unused:UNUSED_PAD src0_sel:DWORD src1_sel:WORD_1
	v_mul_f16_sdwa v225, v80, v2 dst_sel:DWORD dst_unused:UNUSED_PAD src0_sel:DWORD src1_sel:WORD_1
	v_fmac_f16_e32 v218, v213, v3
	v_mul_f16_sdwa v213, v213, v3 dst_sel:DWORD dst_unused:UNUSED_PAD src0_sel:DWORD src1_sel:WORD_1
	v_fma_f16 v219, v85, v3, -v213
	v_lshrrev_b32_e32 v213, 16, v73
	v_fmac_f16_e32 v221, v213, v42
	v_mul_f16_sdwa v213, v213, v42 dst_sel:DWORD dst_unused:UNUSED_PAD src0_sel:DWORD src1_sel:WORD_1
	v_fma_f16 v73, v73, v42, -v213
	s_waitcnt vmcnt(1)
	v_mul_f16_sdwa v213, v222, v36 dst_sel:DWORD dst_unused:UNUSED_PAD src0_sel:DWORD src1_sel:WORD_1
	v_mul_f16_sdwa v214, v74, v36 dst_sel:DWORD dst_unused:UNUSED_PAD src0_sel:DWORD src1_sel:WORD_1
	s_waitcnt vmcnt(0)
	v_mul_f16_sdwa v87, v216, v5 dst_sel:DWORD dst_unused:UNUSED_PAD src0_sel:DWORD src1_sel:WORD_1
	v_mul_f16_sdwa v85, v220, v7 dst_sel:DWORD dst_unused:UNUSED_PAD src0_sel:DWORD src1_sel:WORD_1
	v_fma_f16 v213, v74, v36, -v213
	v_lshrrev_b32_e32 v74, 16, v9
	v_fma_f16 v87, v88, v5, -v87
	v_mul_f16_sdwa v88, v88, v5 dst_sel:DWORD dst_unused:UNUSED_PAD src0_sel:DWORD src1_sel:WORD_1
	v_fma_f16 v85, v86, v7, -v85
	v_mul_f16_sdwa v86, v86, v7 dst_sel:DWORD dst_unused:UNUSED_PAD src0_sel:DWORD src1_sel:WORD_1
	v_fmac_f16_e32 v223, v74, v0
	v_mul_f16_sdwa v74, v74, v0 dst_sel:DWORD dst_unused:UNUSED_PAD src0_sel:DWORD src1_sel:WORD_1
	v_fmac_f16_e32 v88, v216, v5
	v_fmac_f16_e32 v214, v222, v36
	;; [unrolled: 1-line block ×3, first 2 shown]
	v_fma_f16 v9, v9, v0, -v74
	v_add_f16_e32 v74, v9, v73
	v_sub_f16_e32 v9, v9, v73
	v_add_f16_e32 v73, v223, v221
	v_sub_f16_e32 v221, v223, v221
	v_lshrrev_b32_e32 v223, 16, v11
	v_fmac_f16_e32 v224, v223, v41
	v_mul_f16_sdwa v223, v223, v41 dst_sel:DWORD dst_unused:UNUSED_PAD src0_sel:DWORD src1_sel:WORD_1
	v_fma_f16 v11, v11, v41, -v223
	v_add_f16_e32 v223, v217, v11
	v_sub_f16_e32 v11, v217, v11
	v_add_f16_e32 v217, v215, v224
	v_sub_f16_e32 v215, v215, v224
	v_lshrrev_b32_e32 v224, 16, v80
	v_add_f16_e32 v216, v223, v74
	v_sub_f16_e32 v220, v223, v74
	v_sub_f16_e32 v227, v11, v9
	;; [unrolled: 1-line block ×3, first 2 shown]
	v_fmac_f16_e32 v225, v224, v2
	v_mul_f16_sdwa v224, v224, v2 dst_sel:DWORD dst_unused:UNUSED_PAD src0_sel:DWORD src1_sel:WORD_1
	v_fma_f16 v80, v80, v2, -v224
	v_add_f16_e32 v224, v80, v219
	v_sub_f16_e32 v80, v219, v80
	v_add_f16_e32 v219, v225, v218
	v_sub_f16_e32 v218, v218, v225
	v_sub_f16_e32 v74, v74, v224
	;; [unrolled: 1-line block ×3, first 2 shown]
	v_add_f16_e32 v224, v224, v216
	v_add_f16_e32 v216, v217, v73
	v_sub_f16_e32 v223, v217, v73
	v_sub_f16_e32 v225, v73, v219
	v_add_f16_e32 v73, v80, v11
	v_sub_f16_e32 v217, v219, v217
	v_add_f16_e32 v226, v219, v216
	v_sub_f16_e32 v219, v9, v80
	v_sub_f16_e32 v216, v80, v11
	v_add_f16_e32 v228, v73, v9
	v_add_f16_e32 v9, v218, v215
	v_sub_f16_e32 v229, v218, v215
	v_mul_f16_e32 v215, 0x2b26, v217
	v_mul_f16_e32 v73, 0x2b26, v222
	v_sub_f16_e32 v230, v221, v218
	v_add_f16_e32 v232, v9, v221
	v_mul_f16_e32 v9, 0x3a52, v74
	v_fma_f16 v73, v220, 0x39e0, -v73
	v_fmamk_f16 v11, v222, 0x2b26, v9
	v_fma_f16 v74, v220, 0xb9e0, -v9
	v_mul_f16_e32 v9, 0x3a52, v225
	s_waitcnt lgkmcnt(1)
	v_mul_f16_sdwa v225, v83, v4 dst_sel:DWORD dst_unused:UNUSED_PAD src0_sel:DWORD src1_sel:WORD_1
	v_mul_f16_e32 v220, 0x3b00, v231
	v_fmamk_f16 v80, v217, 0x2b26, v9
	v_fma_f16 v217, v223, 0x39e0, -v215
	v_fma_f16 v215, v223, 0xb9e0, -v9
	v_add_f16_e32 v223, v12, v224
	v_mul_f16_e32 v9, 0xb846, v216
	v_mul_f16_e32 v216, 0x3b00, v227
	v_fma_f16 v220, v230, 0xb574, -v220
	v_fmamk_f16 v222, v224, 0xbcab, v223
	v_add_f16_sdwa v224, v12, v226 dst_sel:DWORD dst_unused:UNUSED_PAD src0_sel:WORD_1 src1_sel:DWORD
	v_fma_f16 v218, v227, 0x3b00, -v9
	v_fmamk_f16 v9, v219, 0x3574, v9
	v_fma_f16 v216, v219, 0xb574, -v216
	s_waitcnt lgkmcnt(0)
	v_mul_f16_sdwa v227, v69, v35 dst_sel:DWORD dst_unused:UNUSED_PAD src0_sel:DWORD src1_sel:WORD_1
	v_fmamk_f16 v12, v226, 0xbcab, v224
	v_pack_b32_f16 v223, v223, v224
	v_lshrrev_b32_e32 v224, 16, v83
	v_lshrrev_b32_e32 v226, 16, v69
	v_mul_f16_e32 v219, 0xb846, v229
	v_fmac_f16_e32 v9, 0x370e, v228
	v_fmac_f16_e32 v218, 0x370e, v228
	;; [unrolled: 1-line block ×4, first 2 shown]
	v_mul_f16_sdwa v224, v224, v4 dst_sel:DWORD dst_unused:UNUSED_PAD src0_sel:DWORD src1_sel:WORD_1
	v_fmac_f16_e32 v227, v226, v35
	v_mul_f16_sdwa v226, v226, v35 dst_sel:DWORD dst_unused:UNUSED_PAD src0_sel:DWORD src1_sel:WORD_1
	v_lshrrev_b32_e32 v228, 16, v81
	v_mul_f16_sdwa v229, v81, v6 dst_sel:DWORD dst_unused:UNUSED_PAD src0_sel:DWORD src1_sel:WORD_1
	v_fma_f16 v221, v231, 0x3b00, -v219
	v_fmamk_f16 v219, v230, 0x3574, v219
	v_fma_f16 v83, v83, v4, -v224
	v_fma_f16 v69, v69, v35, -v226
	v_fmac_f16_e32 v229, v228, v6
	v_mul_f16_sdwa v228, v228, v6 dst_sel:DWORD dst_unused:UNUSED_PAD src0_sel:DWORD src1_sel:WORD_1
	v_fmac_f16_e32 v219, 0x370e, v232
	v_fmac_f16_e32 v221, 0x370e, v232
	;; [unrolled: 1-line block ×3, first 2 shown]
	v_add_f16_e32 v224, v83, v213
	v_fma_f16 v81, v81, v6, -v228
	v_add_f16_e32 v226, v87, v69
	v_add_f16_e32 v231, v225, v214
	;; [unrolled: 1-line block ×9, first 2 shown]
	v_sub_f16_e32 v69, v87, v69
	v_add_f16_e32 v230, v228, v230
	v_sub_f16_e32 v81, v85, v81
	v_add_f16_e32 v234, v233, v234
	v_sub_f16_e32 v87, v88, v227
	v_sub_f16_e32 v85, v86, v229
	v_add_f16_e32 v235, v13, v230
	v_add_f16_sdwa v236, v13, v234 dst_sel:DWORD dst_unused:UNUSED_PAD src0_sel:WORD_1 src1_sel:DWORD
	v_add_f16_e32 v13, v73, v222
	v_add_f16_e32 v73, v74, v222
	;; [unrolled: 1-line block ×4, first 2 shown]
	v_sub_f16_e32 v222, v81, v69
	v_sub_f16_e32 v215, v13, v221
	v_add_f16_e32 v13, v221, v13
	v_add_f16_e32 v217, v218, v74
	v_sub_f16_e32 v74, v74, v218
	v_add_f16_e32 v218, v220, v73
	v_sub_f16_e32 v73, v73, v220
	v_sub_f16_e32 v220, v12, v216
	v_add_f16_e32 v12, v216, v12
	v_add_f16_e32 v216, v219, v11
	v_sub_f16_e32 v11, v11, v219
	v_sub_f16_e32 v219, v80, v9
	v_add_f16_e32 v9, v9, v80
	v_pack_b32_f16 v215, v215, v217
	v_pack_b32_f16 v13, v13, v74
	;; [unrolled: 1-line block ×6, first 2 shown]
	ds_write_b32 v89, v80 offset:864
	ds_write_b32 v89, v216 offset:1728
	;; [unrolled: 1-line block ×6, first 2 shown]
	v_pack_b32_f16 v9, v235, v236
	v_lshrrev_b32_e32 v220, 16, v70
	v_lshrrev_b32_e32 v216, 16, v82
	;; [unrolled: 1-line block ×3, first 2 shown]
	v_fmamk_f16 v227, v234, 0xbcab, v236
	ds_write2_b32 v89, v223, v9 offset1:63
	s_clause 0x1
	global_load_dwordx2 v[73:74], v[14:15], off offset:872
	global_load_dwordx4 v[12:15], v[14:15], off offset:856
	v_lshrrev_b32_e32 v9, 16, v84
	v_sub_f16_e32 v223, v85, v87
	s_waitcnt vmcnt(1)
	v_mul_f16_sdwa v221, v220, v73 dst_sel:DWORD dst_unused:UNUSED_PAD src0_sel:DWORD src1_sel:WORD_1
	s_waitcnt vmcnt(0)
	v_mul_f16_sdwa v11, v9, v12 dst_sel:DWORD dst_unused:UNUSED_PAD src0_sel:DWORD src1_sel:WORD_1
	v_mul_f16_sdwa v80, v84, v12 dst_sel:DWORD dst_unused:UNUSED_PAD src0_sel:DWORD src1_sel:WORD_1
	;; [unrolled: 1-line block ×4, first 2 shown]
	v_fma_f16 v221, v70, v73, -v221
	v_fma_f16 v11, v84, v12, -v11
	v_lshrrev_b32_e32 v84, 16, v79
	v_fmac_f16_e32 v80, v9, v12
	v_lshrrev_b32_e32 v9, 16, v212
	v_mul_f16_sdwa v70, v70, v73 dst_sel:DWORD dst_unused:UNUSED_PAD src0_sel:DWORD src1_sel:WORD_1
	v_fma_f16 v217, v82, v14, -v217
	v_mul_f16_sdwa v215, v84, v13 dst_sel:DWORD dst_unused:UNUSED_PAD src0_sel:DWORD src1_sel:WORD_1
	v_mul_f16_sdwa v82, v82, v14 dst_sel:DWORD dst_unused:UNUSED_PAD src0_sel:DWORD src1_sel:WORD_1
	v_fma_f16 v219, v10, v15, -v219
	v_mul_f16_sdwa v10, v10, v15 dst_sel:DWORD dst_unused:UNUSED_PAD src0_sel:DWORD src1_sel:WORD_1
	v_fmac_f16_e32 v70, v220, v73
	v_fma_f16 v215, v79, v13, -v215
	v_mul_f16_sdwa v79, v79, v13 dst_sel:DWORD dst_unused:UNUSED_PAD src0_sel:DWORD src1_sel:WORD_1
	v_fmac_f16_e32 v82, v216, v14
	v_fmac_f16_e32 v10, v218, v15
	v_sub_f16_e32 v216, v224, v228
	v_sub_f16_e32 v220, v233, v232
	v_fmac_f16_e32 v79, v84, v13
	v_mul_f16_sdwa v84, v9, v74 dst_sel:DWORD dst_unused:UNUSED_PAD src0_sel:DWORD src1_sel:WORD_1
	v_sub_f16_e32 v218, v232, v231
	v_mul_f16_e32 v216, 0x3a52, v216
	v_fma_f16 v84, v212, v74, -v84
	v_mul_f16_sdwa v212, v212, v74 dst_sel:DWORD dst_unused:UNUSED_PAD src0_sel:DWORD src1_sel:WORD_1
	v_add_f16_e32 v86, v11, v84
	v_fmac_f16_e32 v212, v9, v74
	v_sub_f16_e32 v9, v83, v213
	v_sub_f16_e32 v213, v215, v221
	;; [unrolled: 1-line block ×4, first 2 shown]
	v_add_f16_e32 v88, v80, v212
	v_sub_f16_e32 v80, v80, v212
	v_add_f16_e32 v212, v215, v221
	v_add_f16_e32 v221, v81, v69
	;; [unrolled: 1-line block ×3, first 2 shown]
	v_sub_f16_e32 v79, v79, v70
	v_add_f16_e32 v11, v217, v219
	v_sub_f16_e32 v70, v219, v217
	v_sub_f16_e32 v217, v228, v226
	;; [unrolled: 1-line block ×4, first 2 shown]
	v_add_f16_e32 v9, v221, v9
	v_add_f16_e32 v221, v85, v87
	;; [unrolled: 1-line block ×3, first 2 shown]
	v_sub_f16_e32 v10, v10, v82
	v_sub_f16_e32 v82, v226, v224
	;; [unrolled: 1-line block ×5, first 2 shown]
	v_add_f16_e32 v83, v221, v83
	v_mul_f16_e32 v221, 0x2b26, v217
	v_fmamk_f16 v217, v217, 0x2b26, v216
	v_fmamk_f16 v226, v230, 0xbcab, v235
	v_add_f16_e32 v224, v214, v88
	v_fma_f16 v221, v82, 0x39e0, -v221
	v_fma_f16 v82, v82, 0xb9e0, -v216
	v_mul_f16_e32 v216, 0x3a52, v219
	v_mul_f16_e32 v219, 0x2b26, v220
	v_add_f16_e32 v224, v215, v224
	v_add_f16_e32 v82, v82, v226
	v_fmamk_f16 v220, v220, 0x2b26, v216
	v_fma_f16 v219, v218, 0x39e0, -v219
	v_fma_f16 v216, v218, 0xb9e0, -v216
	v_mul_f16_e32 v218, 0xb846, v222
	v_mul_f16_e32 v222, 0x3b00, v69
	v_add_f16_e32 v220, v220, v227
	v_add_f16_e32 v219, v219, v227
	;; [unrolled: 1-line block ×3, first 2 shown]
	v_fma_f16 v69, v69, 0x3b00, -v218
	v_fmamk_f16 v218, v81, 0x3574, v218
	v_fma_f16 v81, v81, 0xb574, -v222
	v_mul_f16_e32 v222, 0xb846, v223
	v_mul_f16_e32 v223, 0x3b00, v87
	v_fmac_f16_e32 v69, 0x370e, v9
	v_fmac_f16_e32 v218, 0x370e, v9
	;; [unrolled: 1-line block ×3, first 2 shown]
	v_fma_f16 v87, v87, 0x3b00, -v222
	v_fmamk_f16 v222, v85, 0x3574, v222
	v_fma_f16 v85, v85, 0xb574, -v223
	v_add_f16_e32 v223, v212, v86
	v_add_f16_e32 v9, v217, v226
	v_fmac_f16_e32 v87, 0x370e, v83
	v_add_f16_e32 v217, v221, v226
	v_fmac_f16_e32 v85, 0x370e, v83
	;; [unrolled: 2-line block ×3, first 2 shown]
	v_sub_f16_e32 v221, v217, v87
	v_add_f16_e32 v87, v87, v217
	v_add_f16_e32 v217, v69, v219
	v_sub_f16_e32 v69, v219, v69
	v_add_f16_e32 v219, v85, v82
	v_sub_f16_e32 v82, v82, v85
	v_sub_f16_e32 v85, v216, v81
	v_add_f16_e32 v81, v81, v216
	v_add_f16_e32 v225, v8, v223
	v_add_f16_sdwa v8, v8, v224 dst_sel:DWORD dst_unused:UNUSED_PAD src0_sel:WORD_1 src1_sel:DWORD
	v_add_f16_e32 v216, v222, v9
	v_sub_f16_e32 v9, v9, v222
	v_sub_f16_e32 v222, v220, v218
	v_add_f16_e32 v218, v218, v220
	v_pack_b32_f16 v81, v82, v81
	v_sub_f16_e32 v82, v86, v11
	v_fmamk_f16 v83, v223, 0xbcab, v225
	v_fmamk_f16 v223, v224, 0xbcab, v8
	v_pack_b32_f16 v8, v225, v8
	v_pack_b32_f16 v69, v87, v69
	;; [unrolled: 1-line block ×3, first 2 shown]
	v_sub_f16_e32 v87, v11, v212
	v_sub_f16_e32 v11, v88, v215
	;; [unrolled: 1-line block ×4, first 2 shown]
	v_mul_f16_e32 v82, 0x3a52, v82
	ds_write_b32 v89, v8 offset:504
	v_pack_b32_f16 v8, v216, v222
	v_pack_b32_f16 v85, v219, v85
	v_pack_b32_f16 v216, v221, v217
	v_sub_f16_e32 v215, v215, v214
	v_add_f16_e32 v217, v70, v213
	v_sub_f16_e32 v219, v84, v70
	v_add_f16_e32 v70, v10, v79
	v_sub_f16_e32 v221, v80, v10
	v_mul_f16_e32 v218, 0xb846, v218
	v_mul_f16_e32 v224, 0x3a52, v11
	;; [unrolled: 1-line block ×3, first 2 shown]
	v_fmamk_f16 v10, v87, 0x2b26, v82
	v_add_f16_e32 v217, v217, v84
	v_add_f16_e32 v222, v70, v80
	v_fmamk_f16 v225, v219, 0x3574, v218
	v_fmamk_f16 v226, v221, 0x3574, v220
	v_add_f16_e32 v227, v10, v83
	v_fmamk_f16 v10, v215, 0x2b26, v224
	v_sub_f16_e32 v86, v212, v86
	v_fmac_f16_e32 v225, 0x370e, v217
	v_fmac_f16_e32 v226, 0x370e, v222
	v_sub_f16_e32 v79, v79, v80
	v_add_f16_e32 v228, v10, v223
	v_mul_f16_e32 v80, 0x2b26, v87
	v_sub_f16_e32 v88, v214, v88
	v_add_f16_e32 v10, v226, v227
	v_sub_f16_e32 v84, v213, v84
	v_sub_f16_e32 v11, v228, v225
	v_fma_f16 v80, v86, 0x39e0, -v80
	v_fma_f16 v82, v86, 0xb9e0, -v82
	v_mul_f16_e32 v86, 0x2b26, v215
	v_fma_f16 v87, v88, 0xb9e0, -v224
	v_pack_b32_f16 v10, v10, v11
	ds_write_b32 v89, v85 offset:1980
	ds_write_b32 v89, v216 offset:2844
	ds_write_b32 v89, v69 offset:3708
	ds_write_b32 v89, v81 offset:4572
	ds_write_b32 v89, v9 offset:5436
	ds_write2_b32 v200, v8, v10 offset0:23 offset1:86
	v_subrev_nc_u32_e32 v8, 27, v111
	v_fma_f16 v86, v88, 0x39e0, -v86
	v_fma_f16 v88, v84, 0x3b00, -v218
	v_mul_f16_e32 v84, 0x3b00, v84
	v_add_f16_e32 v80, v80, v83
	v_cndmask_b32_e32 v8, v8, v116, vcc_lo
	v_add_f16_e32 v82, v82, v83
	v_add_f16_e32 v83, v86, v223
	v_fmac_f16_e32 v88, 0x370e, v217
	v_fma_f16 v84, v219, 0xb574, -v84
	v_mul_i32_i24_e32 v9, 24, v8
	v_mul_hi_i32_i24_e32 v10, 24, v8
	v_add_f16_e32 v86, v87, v223
	v_add_f16_e32 v214, v225, v228
	v_fmac_f16_e32 v84, 0x370e, v217
	v_add_co_u32 v8, s0, s14, v9
	v_add_co_ci_u32_e64 v9, s0, s15, v10, s0
	s_clause 0x1
	global_load_dwordx2 v[69:70], v[8:9], off offset:872
	global_load_dwordx4 v[8:11], v[8:9], off offset:856
	v_add_f16_e32 v213, v84, v86
	s_waitcnt vmcnt(1)
	v_mul_f16_sdwa v200, v208, v69 dst_sel:DWORD dst_unused:UNUSED_PAD src0_sel:DWORD src1_sel:WORD_1
	s_waitcnt vmcnt(0)
	v_mul_f16_sdwa v81, v204, v9 dst_sel:DWORD dst_unused:UNUSED_PAD src0_sel:DWORD src1_sel:WORD_1
	v_mul_f16_sdwa v116, v210, v11 dst_sel:DWORD dst_unused:UNUSED_PAD src0_sel:DWORD src1_sel:WORD_1
	;; [unrolled: 1-line block ×4, first 2 shown]
	v_fma_f16 v200, v78, v69, -v200
	v_fma_f16 v81, v71, v9, -v81
	v_mul_f16_sdwa v71, v71, v9 dst_sel:DWORD dst_unused:UNUSED_PAD src0_sel:DWORD src1_sel:WORD_1
	v_mul_f16_sdwa v78, v78, v69 dst_sel:DWORD dst_unused:UNUSED_PAD src0_sel:DWORD src1_sel:WORD_1
	v_fma_f16 v116, v77, v11, -v116
	v_mul_f16_sdwa v77, v77, v11 dst_sel:DWORD dst_unused:UNUSED_PAD src0_sel:DWORD src1_sel:WORD_1
	v_fma_f16 v85, v72, v10, -v85
	v_fmac_f16_e32 v71, v204, v9
	v_fmac_f16_e32 v78, v208, v69
	v_mul_f16_sdwa v204, v209, v70 dst_sel:DWORD dst_unused:UNUSED_PAD src0_sel:DWORD src1_sel:WORD_1
	v_fma_f16 v208, v79, 0x3b00, -v220
	v_mul_f16_e32 v79, 0x3b00, v79
	v_fmac_f16_e32 v77, v210, v11
	v_sub_f16_e32 v210, v83, v88
	v_fma_f16 v204, v207, v70, -v204
	v_mul_f16_sdwa v207, v207, v70 dst_sel:DWORD dst_unused:UNUSED_PAD src0_sel:DWORD src1_sel:WORD_1
	v_fmac_f16_e32 v208, 0x370e, v222
	v_fma_f16 v79, v221, 0xb574, -v79
	v_mul_f16_sdwa v72, v72, v10 dst_sel:DWORD dst_unused:UNUSED_PAD src0_sel:DWORD src1_sel:WORD_1
	v_fmac_f16_e32 v87, v206, v8
	v_fmac_f16_e32 v207, v209, v70
	v_sub_f16_e32 v209, v80, v208
	v_add_f16_e32 v80, v208, v80
	v_add_f16_e32 v208, v88, v83
	v_mul_f16_sdwa v83, v206, v8 dst_sel:DWORD dst_unused:UNUSED_PAD src0_sel:DWORD src1_sel:WORD_1
	v_fmac_f16_e32 v79, 0x370e, v222
	v_fmac_f16_e32 v72, v211, v10
	v_sub_f16_e32 v206, v227, v226
	v_fma_f16 v76, v76, v8, -v83
	v_add_f16_e32 v211, v79, v82
	v_sub_f16_e32 v212, v82, v79
	v_sub_f16_e32 v79, v86, v84
	v_add_f16_e32 v86, v81, v200
	v_add_f16_e32 v82, v76, v204
	;; [unrolled: 1-line block ×3, first 2 shown]
	v_sub_f16_e32 v84, v87, v207
	v_sub_f16_e32 v81, v81, v200
	v_add_f16_e32 v87, v71, v78
	v_sub_f16_e32 v71, v71, v78
	v_add_f16_e32 v78, v85, v116
	;; [unrolled: 2-line block ×4, first 2 shown]
	v_sub_f16_e32 v72, v77, v72
	v_sub_f16_e32 v77, v86, v82
	;; [unrolled: 1-line block ×4, first 2 shown]
	v_add_f16_e32 v78, v78, v116
	v_add_f16_e32 v116, v87, v83
	;; [unrolled: 1-line block ×3, first 2 shown]
	v_sub_f16_e32 v200, v87, v83
	v_sub_f16_e32 v83, v83, v88
	;; [unrolled: 1-line block ×3, first 2 shown]
	v_add_f16_e32 v88, v88, v116
	v_sub_f16_e32 v116, v85, v81
	v_sub_f16_e32 v85, v76, v85
	;; [unrolled: 1-line block ×3, first 2 shown]
	v_add_f16_e32 v76, v204, v76
	v_add_f16_e32 v204, v72, v71
	v_sub_f16_e32 v207, v72, v71
	v_sub_f16_e32 v72, v84, v72
	v_mul_f16_e32 v82, 0x3a52, v82
	v_sub_f16_e32 v71, v71, v84
	v_add_f16_e32 v204, v204, v84
	v_mul_f16_e32 v84, 0x2b26, v86
	v_mul_f16_e32 v83, 0x3a52, v83
	v_fmamk_f16 v215, v86, 0x2b26, v82
	v_mul_f16_e32 v86, 0x2b26, v87
	v_add_f16_e32 v75, v75, v78
	v_fma_f16 v216, v77, 0x39e0, -v84
	v_mul_f16_e32 v84, 0x3b00, v81
	v_fma_f16 v77, v77, 0xb9e0, -v82
	v_mul_f16_e32 v82, 0xb846, v116
	v_fmamk_f16 v116, v87, 0x2b26, v83
	v_fma_f16 v217, v200, 0x39e0, -v86
	v_fma_f16 v200, v200, 0xb9e0, -v83
	v_mul_f16_e32 v86, 0xb846, v207
	v_fma_f16 v83, v85, 0xb574, -v84
	v_add_f16_e32 v84, v205, v88
	v_mul_f16_e32 v87, 0x3b00, v71
	v_fma_f16 v81, v81, 0x3b00, -v82
	v_fmamk_f16 v82, v85, 0x3574, v82
	v_fmamk_f16 v78, v78, 0xbcab, v75
	v_fma_f16 v71, v71, 0x3b00, -v86
	v_fmamk_f16 v85, v72, 0x3574, v86
	v_fmamk_f16 v205, v88, 0xbcab, v84
	v_fma_f16 v86, v72, 0xb574, -v87
	v_add_f16_e32 v87, v215, v78
	v_add_f16_e32 v72, v216, v78
	;; [unrolled: 1-line block ×6, first 2 shown]
	v_fmac_f16_e32 v82, 0x370e, v76
	v_fmac_f16_e32 v81, 0x370e, v76
	;; [unrolled: 1-line block ×6, first 2 shown]
	v_pack_b32_f16 v76, v211, v79
	v_add_f16_e32 v78, v81, v77
	v_sub_f16_e32 v77, v77, v81
	v_lshlrev_b32_e32 v204, 2, v203
	v_lshlrev_b32_e32 v203, 3, v201
	;; [unrolled: 1-line block ×4, first 2 shown]
	ds_write_b32 v89, v76 offset:2232
	v_pack_b32_f16 v117, v209, v208
	v_sub_f16_e32 v76, v72, v71
	v_add_f16_e32 v71, v71, v72
	v_sub_f16_e32 v72, v88, v86
	v_pack_b32_f16 v202, v80, v210
	v_add_f16_e32 v79, v83, v205
	v_sub_f16_e32 v80, v87, v85
	v_add_f16_e32 v81, v82, v116
	v_pack_b32_f16 v207, v212, v213
	v_pack_b32_f16 v206, v206, v214
	ds_write_b32 v89, v117 offset:3096
	ds_write_b32 v89, v202 offset:3960
	;; [unrolled: 1-line block ×4, first 2 shown]
	s_and_saveexec_b32 s0, vcc_lo
	s_cbranch_execz .LBB0_5
; %bb.4:
	v_sub_f16_e32 v82, v116, v82
	v_add_f16_e32 v85, v85, v87
	v_sub_f16_e32 v83, v205, v83
	v_add_f16_e32 v86, v86, v88
	v_perm_b32 v75, v84, v75, 0x5040100
	v_add_nc_u32_e32 v84, 0x280, v89
	v_pack_b32_f16 v82, v85, v82
	v_perm_b32 v85, v78, v76, 0x5040100
	v_pack_b32_f16 v83, v86, v83
	v_add_nc_u32_e32 v86, 0x980, v89
	v_perm_b32 v87, v77, v71, 0x5040100
	v_perm_b32 v88, v79, v72, 0x5040100
	v_add_nc_u32_e32 v116, 0x1000, v89
	v_perm_b32 v117, v81, v80, 0x5040100
	ds_write2_b32 v84, v75, v82 offset0:29 offset1:245
	ds_write2_b32 v86, v83, v85 offset0:13 offset1:229
	;; [unrolled: 1-line block ×3, first 2 shown]
	ds_write_b32 v89, v117 offset:5940
.LBB0_5:
	s_or_b32 exec_lo, exec_lo, s0
	v_lshlrev_b32_e32 v75, 2, v111
	s_waitcnt lgkmcnt(0)
	s_barrier
	buffer_gl0_inv
	v_add_co_u32 v82, s0, s12, v75
	v_add_co_ci_u32_e64 v84, null, s13, 0, s0
	v_add_co_u32 v85, s0, 0x1000, v82
	v_add_co_ci_u32_e64 v86, s0, 0, v84, s0
	global_load_dword v75, v[85:86], off offset:1952
	v_add_co_u32 v85, s0, 0x17a0, v82
	v_add_co_ci_u32_e64 v86, s0, 0, v84, s0
	s_clause 0x7
	global_load_dword v83, v[85:86], off offset:252
	global_load_dword v116, v[85:86], off offset:504
	global_load_dword v117, v[85:86], off offset:756
	global_load_dword v202, v[85:86], off offset:1008
	global_load_dword v205, v[85:86], off offset:1260
	global_load_dword v206, v[85:86], off offset:1512
	global_load_dword v207, v[85:86], off offset:1764
	global_load_dword v208, v[85:86], off offset:2016
	v_add_co_u32 v85, s0, 0x2000, v82
	v_add_co_ci_u32_e64 v86, s0, 0, v84, s0
	s_clause 0x5
	global_load_dword v209, v[85:86], off offset:1132
	global_load_dword v210, v[85:86], off offset:1384
	;; [unrolled: 1-line block ×6, first 2 shown]
	ds_read2_b32 v[87:88], v89 offset1:63
	s_waitcnt lgkmcnt(0)
	v_lshrrev_b32_e32 v215, 16, v87
	s_waitcnt vmcnt(14)
	v_mul_f16_sdwa v216, v87, v75 dst_sel:DWORD dst_unused:UNUSED_PAD src0_sel:DWORD src1_sel:WORD_1
	s_waitcnt vmcnt(13)
	v_mul_f16_sdwa v217, v88, v83 dst_sel:DWORD dst_unused:UNUSED_PAD src0_sel:DWORD src1_sel:WORD_1
	v_fmac_f16_e32 v216, v215, v75
	v_mul_f16_sdwa v215, v215, v75 dst_sel:DWORD dst_unused:UNUSED_PAD src0_sel:DWORD src1_sel:WORD_1
	v_fma_f16 v75, v87, v75, -v215
	v_lshrrev_b32_e32 v87, 16, v88
	v_pack_b32_f16 v75, v75, v216
	v_mul_f16_sdwa v215, v87, v83 dst_sel:DWORD dst_unused:UNUSED_PAD src0_sel:DWORD src1_sel:WORD_1
	v_fmac_f16_e32 v217, v87, v83
	ds_write_b32 v89, v75
	v_fma_f16 v215, v88, v83, -v215
	global_load_dword v83, v[85:86], off offset:880
	v_add_nc_u32_e32 v75, 0xa00, v89
	ds_read2_b32 v[87:88], v75 offset0:116 offset1:179
	s_waitcnt lgkmcnt(0)
	v_lshrrev_b32_e32 v216, 16, v87
	s_waitcnt vmcnt(6)
	v_mul_f16_sdwa v220, v88, v209 dst_sel:DWORD dst_unused:UNUSED_PAD src0_sel:DWORD src1_sel:WORD_1
	s_waitcnt vmcnt(0)
	v_mul_f16_sdwa v218, v87, v83 dst_sel:DWORD dst_unused:UNUSED_PAD src0_sel:DWORD src1_sel:WORD_1
	v_fmac_f16_e32 v218, v216, v83
	v_mul_f16_sdwa v216, v216, v83 dst_sel:DWORD dst_unused:UNUSED_PAD src0_sel:DWORD src1_sel:WORD_1
	v_fma_f16 v216, v87, v83, -v216
	v_lshrrev_b32_e32 v83, 16, v88
	v_mul_f16_sdwa v87, v83, v209 dst_sel:DWORD dst_unused:UNUSED_PAD src0_sel:DWORD src1_sel:WORD_1
	v_fmac_f16_e32 v220, v83, v209
	v_fma_f16 v219, v88, v209, -v87
	ds_read2_b32 v[87:88], v89 offset0:126 offset1:189
	s_waitcnt lgkmcnt(0)
	v_lshrrev_b32_e32 v83, 16, v87
	v_mul_f16_sdwa v209, v87, v116 dst_sel:DWORD dst_unused:UNUSED_PAD src0_sel:DWORD src1_sel:WORD_1
	v_mul_f16_sdwa v223, v88, v117 dst_sel:DWORD dst_unused:UNUSED_PAD src0_sel:DWORD src1_sel:WORD_1
	v_fmac_f16_e32 v209, v83, v116
	v_mul_f16_sdwa v83, v83, v116 dst_sel:DWORD dst_unused:UNUSED_PAD src0_sel:DWORD src1_sel:WORD_1
	v_fma_f16 v221, v87, v116, -v83
	v_lshrrev_b32_e32 v83, 16, v88
	v_pack_b32_f16 v209, v221, v209
	v_mul_f16_sdwa v87, v83, v117 dst_sel:DWORD dst_unused:UNUSED_PAD src0_sel:DWORD src1_sel:WORD_1
	v_fmac_f16_e32 v223, v83, v117
	v_add_nc_u32_e32 v83, 0xc00, v89
	v_fma_f16 v222, v88, v117, -v87
	ds_read2_b32 v[87:88], v83 offset0:114 offset1:177
	s_waitcnt lgkmcnt(0)
	v_lshrrev_b32_e32 v116, 16, v87
	v_mul_f16_sdwa v224, v87, v210 dst_sel:DWORD dst_unused:UNUSED_PAD src0_sel:DWORD src1_sel:WORD_1
	v_mul_f16_sdwa v226, v88, v211 dst_sel:DWORD dst_unused:UNUSED_PAD src0_sel:DWORD src1_sel:WORD_1
	v_fmac_f16_e32 v224, v116, v210
	v_mul_f16_sdwa v116, v116, v210 dst_sel:DWORD dst_unused:UNUSED_PAD src0_sel:DWORD src1_sel:WORD_1
	v_fma_f16 v210, v87, v210, -v116
	v_lshrrev_b32_e32 v87, 16, v88
	v_pack_b32_f16 v210, v210, v224
	v_mul_f16_sdwa v116, v87, v211 dst_sel:DWORD dst_unused:UNUSED_PAD src0_sel:DWORD src1_sel:WORD_1
	v_fmac_f16_e32 v226, v87, v211
	v_fma_f16 v225, v88, v211, -v116
	v_add_nc_u32_e32 v88, 0x200, v89
	ds_read2_b32 v[116:117], v88 offset0:124 offset1:187
	s_waitcnt lgkmcnt(0)
	v_lshrrev_b32_e32 v87, 16, v116
	v_mul_f16_sdwa v211, v116, v202 dst_sel:DWORD dst_unused:UNUSED_PAD src0_sel:DWORD src1_sel:WORD_1
	v_mul_f16_sdwa v228, v117, v205 dst_sel:DWORD dst_unused:UNUSED_PAD src0_sel:DWORD src1_sel:WORD_1
	v_fmac_f16_e32 v211, v87, v202
	v_mul_f16_sdwa v87, v87, v202 dst_sel:DWORD dst_unused:UNUSED_PAD src0_sel:DWORD src1_sel:WORD_1
	v_fma_f16 v202, v116, v202, -v87
	v_lshrrev_b32_e32 v87, 16, v117
	v_pack_b32_f16 v202, v202, v211
	v_mul_f16_sdwa v116, v87, v205 dst_sel:DWORD dst_unused:UNUSED_PAD src0_sel:DWORD src1_sel:WORD_1
	v_fmac_f16_e32 v228, v87, v205
	v_fma_f16 v227, v117, v205, -v116
	global_load_dword v116, v[85:86], off offset:1888
	v_add_co_u32 v85, s0, 0x2800, v82
	v_add_co_ci_u32_e64 v86, s0, 0, v84, s0
	s_clause 0x6
	global_load_dword v82, v[85:86], off offset:92
	global_load_dword v117, v[85:86], off offset:344
	;; [unrolled: 1-line block ×7, first 2 shown]
	v_add_nc_u32_e32 v85, 0xe00, v89
	ds_read2_b32 v[86:87], v85 offset0:112 offset1:175
	s_waitcnt lgkmcnt(0)
	v_lshrrev_b32_e32 v84, 16, v86
	s_waitcnt vmcnt(7)
	v_mul_f16_sdwa v233, v86, v116 dst_sel:DWORD dst_unused:UNUSED_PAD src0_sel:DWORD src1_sel:WORD_1
	s_waitcnt vmcnt(6)
	v_mul_f16_sdwa v236, v87, v82 dst_sel:DWORD dst_unused:UNUSED_PAD src0_sel:DWORD src1_sel:WORD_1
	v_fmac_f16_e32 v233, v84, v116
	v_mul_f16_sdwa v84, v84, v116 dst_sel:DWORD dst_unused:UNUSED_PAD src0_sel:DWORD src1_sel:WORD_1
	v_fma_f16 v234, v86, v116, -v84
	v_lshrrev_b32_e32 v84, 16, v87
	v_mul_f16_sdwa v86, v84, v82 dst_sel:DWORD dst_unused:UNUSED_PAD src0_sel:DWORD src1_sel:WORD_1
	v_fmac_f16_e32 v236, v84, v82
	v_fma_f16 v235, v87, v82, -v86
	v_add_nc_u32_e32 v82, 0x400, v89
	ds_read2_b32 v[86:87], v82 offset0:122 offset1:185
	s_waitcnt lgkmcnt(0)
	v_lshrrev_b32_e32 v84, 16, v86
	v_mul_f16_sdwa v237, v86, v206 dst_sel:DWORD dst_unused:UNUSED_PAD src0_sel:DWORD src1_sel:WORD_1
	v_mul_f16_sdwa v240, v87, v207 dst_sel:DWORD dst_unused:UNUSED_PAD src0_sel:DWORD src1_sel:WORD_1
	v_fmac_f16_e32 v237, v84, v206
	v_mul_f16_sdwa v84, v84, v206 dst_sel:DWORD dst_unused:UNUSED_PAD src0_sel:DWORD src1_sel:WORD_1
	v_fma_f16 v238, v86, v206, -v84
	v_lshrrev_b32_e32 v84, 16, v87
	v_mul_f16_sdwa v86, v84, v207 dst_sel:DWORD dst_unused:UNUSED_PAD src0_sel:DWORD src1_sel:WORD_1
	v_fmac_f16_e32 v240, v84, v207
	v_add_nc_u32_e32 v84, 0x1000, v89
	v_fma_f16 v239, v87, v207, -v86
	ds_read2_b32 v[86:87], v84 offset0:110 offset1:173
	s_waitcnt lgkmcnt(0)
	v_lshrrev_b32_e32 v116, 16, v86
	s_waitcnt vmcnt(5)
	v_mul_f16_sdwa v207, v86, v117 dst_sel:DWORD dst_unused:UNUSED_PAD src0_sel:DWORD src1_sel:WORD_1
	s_waitcnt vmcnt(4)
	v_mul_f16_sdwa v243, v87, v205 dst_sel:DWORD dst_unused:UNUSED_PAD src0_sel:DWORD src1_sel:WORD_1
	v_fmac_f16_e32 v207, v116, v117
	v_mul_f16_sdwa v116, v116, v117 dst_sel:DWORD dst_unused:UNUSED_PAD src0_sel:DWORD src1_sel:WORD_1
	v_fma_f16 v241, v86, v117, -v116
	v_lshrrev_b32_e32 v86, 16, v87
	v_add_nc_u32_e32 v117, 0x600, v89
	v_pack_b32_f16 v207, v241, v207
	v_mul_f16_sdwa v116, v86, v205 dst_sel:DWORD dst_unused:UNUSED_PAD src0_sel:DWORD src1_sel:WORD_1
	v_fmac_f16_e32 v243, v86, v205
	v_fma_f16 v242, v87, v205, -v116
	ds_read2_b32 v[86:87], v117 offset0:120 offset1:183
	s_waitcnt lgkmcnt(0)
	v_lshrrev_b32_e32 v116, 16, v86
	v_mul_f16_sdwa v244, v86, v208 dst_sel:DWORD dst_unused:UNUSED_PAD src0_sel:DWORD src1_sel:WORD_1
	v_mul_f16_sdwa v246, v87, v212 dst_sel:DWORD dst_unused:UNUSED_PAD src0_sel:DWORD src1_sel:WORD_1
	v_fmac_f16_e32 v244, v116, v208
	v_mul_f16_sdwa v116, v116, v208 dst_sel:DWORD dst_unused:UNUSED_PAD src0_sel:DWORD src1_sel:WORD_1
	v_fma_f16 v208, v86, v208, -v116
	v_lshrrev_b32_e32 v86, 16, v87
	v_mul_f16_sdwa v116, v86, v212 dst_sel:DWORD dst_unused:UNUSED_PAD src0_sel:DWORD src1_sel:WORD_1
	v_fmac_f16_e32 v246, v86, v212
	v_fma_f16 v245, v87, v212, -v116
	v_add_nc_u32_e32 v116, 0x1200, v89
	ds_read2_b32 v[86:87], v116 offset0:108 offset1:171
	s_waitcnt lgkmcnt(0)
	v_lshrrev_b32_e32 v205, 16, v86
	s_waitcnt vmcnt(3)
	v_mul_f16_sdwa v212, v86, v229 dst_sel:DWORD dst_unused:UNUSED_PAD src0_sel:DWORD src1_sel:WORD_1
	s_waitcnt vmcnt(2)
	v_mul_f16_sdwa v248, v87, v230 dst_sel:DWORD dst_unused:UNUSED_PAD src0_sel:DWORD src1_sel:WORD_1
	v_fmac_f16_e32 v212, v205, v229
	v_mul_f16_sdwa v205, v205, v229 dst_sel:DWORD dst_unused:UNUSED_PAD src0_sel:DWORD src1_sel:WORD_1
	v_fma_f16 v229, v86, v229, -v205
	v_lshrrev_b32_e32 v86, 16, v87
	v_mul_f16_sdwa v205, v86, v230 dst_sel:DWORD dst_unused:UNUSED_PAD src0_sel:DWORD src1_sel:WORD_1
	v_fmac_f16_e32 v248, v86, v230
	v_add_nc_u32_e32 v86, 0x800, v89
	v_fma_f16 v247, v87, v230, -v205
	ds_read2_b32 v[205:206], v86 offset0:118 offset1:181
	s_waitcnt lgkmcnt(0)
	v_lshrrev_b32_e32 v87, 16, v205
	v_mul_f16_sdwa v230, v205, v213 dst_sel:DWORD dst_unused:UNUSED_PAD src0_sel:DWORD src1_sel:WORD_1
	v_mul_f16_sdwa v250, v206, v214 dst_sel:DWORD dst_unused:UNUSED_PAD src0_sel:DWORD src1_sel:WORD_1
	v_fmac_f16_e32 v230, v87, v213
	v_mul_f16_sdwa v87, v87, v213 dst_sel:DWORD dst_unused:UNUSED_PAD src0_sel:DWORD src1_sel:WORD_1
	v_fma_f16 v213, v205, v213, -v87
	v_lshrrev_b32_e32 v87, 16, v206
	v_mul_f16_sdwa v205, v87, v214 dst_sel:DWORD dst_unused:UNUSED_PAD src0_sel:DWORD src1_sel:WORD_1
	v_fmac_f16_e32 v250, v87, v214
	v_add_nc_u32_e32 v87, 0x1400, v89
	v_fma_f16 v249, v206, v214, -v205
	ds_read2_b32 v[205:206], v87 offset0:106 offset1:169
	s_waitcnt lgkmcnt(0)
	v_lshrrev_b32_e32 v214, 16, v205
	s_waitcnt vmcnt(1)
	v_mul_f16_sdwa v251, v205, v231 dst_sel:DWORD dst_unused:UNUSED_PAD src0_sel:DWORD src1_sel:WORD_1
	v_fmac_f16_e32 v251, v214, v231
	v_mul_f16_sdwa v214, v214, v231 dst_sel:DWORD dst_unused:UNUSED_PAD src0_sel:DWORD src1_sel:WORD_1
	v_fma_f16 v205, v205, v231, -v214
	v_lshrrev_b32_e32 v214, 16, v206
	v_pack_b32_f16 v205, v205, v251
	s_waitcnt vmcnt(0)
	v_mul_f16_sdwa v231, v214, v232 dst_sel:DWORD dst_unused:UNUSED_PAD src0_sel:DWORD src1_sel:WORD_1
	v_fma_f16 v231, v206, v232, -v231
	v_mul_f16_sdwa v206, v206, v232 dst_sel:DWORD dst_unused:UNUSED_PAD src0_sel:DWORD src1_sel:WORD_1
	v_fmac_f16_e32 v206, v214, v232
	v_pack_b32_f16 v214, v215, v217
	ds_write2_b32 v89, v214, v209 offset0:63 offset1:126
	v_pack_b32_f16 v209, v219, v220
	ds_write2_b32 v83, v209, v210 offset0:51 offset1:114
	;; [unrolled: 2-line block ×3, first 2 shown]
	v_pack_b32_f16 v202, v225, v226
	v_pack_b32_f16 v209, v234, v233
	ds_write2_b32 v83, v202, v209 offset0:177 offset1:240
	v_pack_b32_f16 v202, v227, v228
	v_pack_b32_f16 v209, v238, v237
	ds_write2_b32 v82, v202, v209 offset0:59 offset1:122
	v_pack_b32_f16 v202, v235, v236
	ds_write2_b32 v84, v202, v207 offset0:47 offset1:110
	v_pack_b32_f16 v202, v239, v240
	v_pack_b32_f16 v207, v208, v244
	ds_write2_b32 v82, v202, v207 offset0:185 offset1:248
	v_pack_b32_f16 v202, v242, v243
	;; [unrolled: 3-line block ×4, first 2 shown]
	ds_write2_b32 v87, v202, v205 offset0:43 offset1:106
	v_pack_b32_f16 v202, v216, v218
	v_pack_b32_f16 v205, v249, v250
	ds_write2_b32 v86, v205, v202 offset0:181 offset1:244
	v_pack_b32_f16 v202, v231, v206
	ds_write_b32 v89, v202 offset:5796
	s_waitcnt lgkmcnt(0)
	s_barrier
	buffer_gl0_inv
	ds_read2_b32 v[205:206], v89 offset1:63
	ds_read2_b32 v[207:208], v75 offset0:116 offset1:179
	ds_read2_b32 v[211:212], v89 offset0:126 offset1:189
	;; [unrolled: 1-line block ×11, first 2 shown]
	s_waitcnt lgkmcnt(0)
	s_barrier
	buffer_gl0_inv
	v_pk_add_f16 v210, v205, v207 neg_lo:[0,1] neg_hi:[0,1]
	v_pk_add_f16 v207, v206, v208 neg_lo:[0,1] neg_hi:[0,1]
	v_pk_fma_f16 v209, v205, 2.0, v210 op_sel_hi:[1,0,1] neg_lo:[0,0,1] neg_hi:[0,0,1]
	v_pk_fma_f16 v206, v206, 2.0, v207 op_sel_hi:[1,0,1] neg_lo:[0,0,1] neg_hi:[0,0,1]
	ds_write_b64 v115, v[209:210]
	ds_write_b64 v199, v[206:207]
	v_pk_add_f16 v206, v211, v213 neg_lo:[0,1] neg_hi:[0,1]
	v_pk_add_f16 v199, v212, v214 neg_lo:[0,1] neg_hi:[0,1]
	v_pk_fma_f16 v205, v211, 2.0, v206 op_sel_hi:[1,0,1] neg_lo:[0,0,1] neg_hi:[0,0,1]
	ds_write_b64 v198, v[205:206]
	v_pk_fma_f16 v198, v212, 2.0, v199 op_sel_hi:[1,0,1] neg_lo:[0,0,1] neg_hi:[0,0,1]
	ds_write_b64 v197, v[198:199]
	v_pk_add_f16 v198, v215, v217 neg_lo:[0,1] neg_hi:[0,1]
	v_pk_fma_f16 v197, v215, 2.0, v198 op_sel_hi:[1,0,1] neg_lo:[0,0,1] neg_hi:[0,0,1]
	ds_write_b64 v196, v[197:198]
	v_pk_add_f16 v197, v216, v218 neg_lo:[0,1] neg_hi:[0,1]
	;; [unrolled: 3-line block ×8, first 2 shown]
	v_pk_fma_f16 v193, v228, 2.0, v194 op_sel_hi:[1,0,1] neg_lo:[0,0,1] neg_hi:[0,0,1]
	ds_write_b64 v200, v[193:194]
	s_waitcnt lgkmcnt(0)
	s_barrier
	buffer_gl0_inv
	ds_read2_b32 v[193:194], v75 offset0:116 offset1:179
	s_waitcnt lgkmcnt(0)
	v_lshrrev_b32_e32 v115, 16, v193
	v_mul_f16_sdwa v195, v170, v193 dst_sel:DWORD dst_unused:UNUSED_PAD src0_sel:WORD_1 src1_sel:DWORD
	v_fma_f16 v197, v170, v115, -v195
	ds_read2_b32 v[195:196], v89 offset1:63
	v_mul_f16_sdwa v115, v170, v115 dst_sel:DWORD dst_unused:UNUSED_PAD src0_sel:WORD_1 src1_sel:DWORD
	v_fmac_f16_e32 v115, v170, v193
	s_waitcnt lgkmcnt(0)
	v_lshrrev_b32_e32 v193, 16, v195
	v_sub_f16_e32 v115, v195, v115
	v_sub_f16_e32 v197, v193, v197
	v_fma_f16 v193, v193, 2.0, -v197
	v_pack_b32_f16 v217, v115, v197
	v_fma_f16 v115, v195, 2.0, -v115
	ds_read2_b32 v[197:198], v89 offset0:126 offset1:189
	ds_read2_b32 v[199:200], v83 offset0:114 offset1:177
	;; [unrolled: 1-line block ×10, first 2 shown]
	s_waitcnt lgkmcnt(0)
	s_barrier
	buffer_gl0_inv
	v_pack_b32_f16 v115, v115, v193
	v_mul_f16_sdwa v193, v169, v194 dst_sel:DWORD dst_unused:UNUSED_PAD src0_sel:WORD_1 src1_sel:DWORD
	ds_write2_b32 v192, v115, v217 offset1:2
	v_lshrrev_b32_e32 v115, 16, v194
	v_mul_f16_sdwa v192, v169, v115 dst_sel:DWORD dst_unused:UNUSED_PAD src0_sel:WORD_1 src1_sel:DWORD
	v_fma_f16 v115, v189, v115, -v193
	v_fmac_f16_e32 v192, v189, v194
	v_sub_f16_e32 v189, v196, v192
	v_lshrrev_b32_e32 v192, 16, v196
	v_fma_f16 v193, v196, 2.0, -v189
	v_sub_f16_e32 v115, v192, v115
	v_fma_f16 v192, v192, 2.0, -v115
	v_pack_b32_f16 v115, v189, v115
	v_pack_b32_f16 v189, v193, v192
	ds_write2_b32 v191, v189, v115 offset1:2
	v_lshrrev_b32_e32 v115, 16, v199
	v_mul_f16_sdwa v189, v170, v199 dst_sel:DWORD dst_unused:UNUSED_PAD src0_sel:WORD_1 src1_sel:DWORD
	v_lshrrev_b32_e32 v191, 16, v197
	v_fma_f16 v189, v170, v115, -v189
	v_mul_f16_sdwa v115, v170, v115 dst_sel:DWORD dst_unused:UNUSED_PAD src0_sel:WORD_1 src1_sel:DWORD
	v_sub_f16_e32 v189, v191, v189
	v_fmac_f16_e32 v115, v170, v199
	v_fma_f16 v191, v191, 2.0, -v189
	v_sub_f16_e32 v115, v197, v115
	v_pack_b32_f16 v189, v115, v189
	v_fma_f16 v115, v197, 2.0, -v115
	v_pack_b32_f16 v115, v115, v191
	ds_write2_b32 v190, v115, v189 offset1:2
	v_lshrrev_b32_e32 v115, 16, v200
	v_mul_f16_e32 v189, v184, v115
	v_mul_f16_e32 v184, v184, v200
	v_fmac_f16_e32 v189, v186, v200
	v_fma_f16 v115, v186, v115, -v184
	v_lshrrev_b32_e32 v186, 16, v198
	v_sub_f16_e32 v184, v198, v189
	v_sub_f16_e32 v115, v186, v115
	v_fma_f16 v189, v198, 2.0, -v184
	v_fma_f16 v186, v186, 2.0, -v115
	v_pack_b32_f16 v115, v184, v115
	v_pack_b32_f16 v184, v189, v186
	v_lshrrev_b32_e32 v186, 16, v201
	ds_write2_b32 v188, v184, v115 offset1:2
	v_lshrrev_b32_e32 v115, 16, v203
	v_mul_f16_sdwa v184, v170, v203 dst_sel:DWORD dst_unused:UNUSED_PAD src0_sel:WORD_1 src1_sel:DWORD
	v_fma_f16 v184, v170, v115, -v184
	v_mul_f16_sdwa v115, v170, v115 dst_sel:DWORD dst_unused:UNUSED_PAD src0_sel:WORD_1 src1_sel:DWORD
	v_sub_f16_e32 v184, v186, v184
	v_fmac_f16_e32 v115, v170, v203
	v_fma_f16 v186, v186, 2.0, -v184
	v_sub_f16_e32 v115, v201, v115
	v_pack_b32_f16 v184, v115, v184
	v_fma_f16 v115, v201, 2.0, -v115
	v_pack_b32_f16 v115, v115, v186
	ds_write2_b32 v187, v115, v184 offset1:2
	v_lshrrev_b32_e32 v115, 16, v204
	v_mul_f16_e32 v184, v180, v115
	v_mul_f16_e32 v180, v180, v204
	v_fmac_f16_e32 v184, v181, v204
	v_fma_f16 v115, v181, v115, -v180
	v_lshrrev_b32_e32 v181, 16, v202
	v_sub_f16_e32 v180, v202, v184
	v_sub_f16_e32 v115, v181, v115
	v_fma_f16 v184, v202, 2.0, -v180
	v_fma_f16 v181, v181, 2.0, -v115
	v_pack_b32_f16 v115, v180, v115
	v_pack_b32_f16 v180, v184, v181
	v_lshrrev_b32_e32 v181, 16, v205
	ds_write2_b32 v185, v180, v115 offset1:2
	v_lshrrev_b32_e32 v115, 16, v207
	v_mul_f16_sdwa v180, v170, v207 dst_sel:DWORD dst_unused:UNUSED_PAD src0_sel:WORD_1 src1_sel:DWORD
	;; [unrolled: 26-line block ×3, first 2 shown]
	v_fma_f16 v176, v170, v115, -v176
	v_mul_f16_sdwa v115, v170, v115 dst_sel:DWORD dst_unused:UNUSED_PAD src0_sel:WORD_1 src1_sel:DWORD
	v_sub_f16_e32 v176, v177, v176
	v_fmac_f16_e32 v115, v170, v211
	v_fma_f16 v177, v177, 2.0, -v176
	v_sub_f16_e32 v115, v209, v115
	v_pack_b32_f16 v176, v115, v176
	v_fma_f16 v115, v209, 2.0, -v115
	v_pack_b32_f16 v115, v115, v177
	ds_write2_b32 v179, v115, v176 offset1:2
	v_lshrrev_b32_e32 v115, 16, v212
	v_mul_f16_e32 v176, v173, v115
	v_mul_f16_e32 v173, v173, v212
	v_fmac_f16_e32 v176, v174, v212
	v_fma_f16 v115, v174, v115, -v173
	v_lshrrev_b32_e32 v174, 16, v210
	v_sub_f16_e32 v173, v210, v176
	v_sub_f16_e32 v115, v174, v115
	v_fma_f16 v176, v210, 2.0, -v173
	v_fma_f16 v174, v174, 2.0, -v115
	v_pack_b32_f16 v115, v173, v115
	v_pack_b32_f16 v173, v176, v174
	ds_write2_b32 v178, v173, v115 offset1:2
	v_lshrrev_b32_e32 v115, 16, v215
	v_mul_f16_sdwa v173, v170, v215 dst_sel:DWORD dst_unused:UNUSED_PAD src0_sel:WORD_1 src1_sel:DWORD
	v_fma_f16 v173, v170, v115, -v173
	v_mul_f16_sdwa v115, v170, v115 dst_sel:DWORD dst_unused:UNUSED_PAD src0_sel:WORD_1 src1_sel:DWORD
	v_fmac_f16_e32 v115, v170, v215
	v_lshrrev_b32_e32 v170, 16, v213
	v_sub_f16_e32 v115, v213, v115
	v_sub_f16_e32 v173, v170, v173
	v_fma_f16 v170, v170, 2.0, -v173
	v_pack_b32_f16 v173, v115, v173
	v_fma_f16 v115, v213, 2.0, -v115
	v_pack_b32_f16 v115, v115, v170
	ds_write2_b32 v175, v115, v173 offset1:2
	v_lshrrev_b32_e32 v115, 16, v216
	v_mul_f16_e32 v170, v171, v115
	v_mul_f16_e32 v171, v171, v216
	v_fmac_f16_e32 v170, v169, v216
	v_fma_f16 v115, v169, v115, -v171
	v_sub_f16_e32 v169, v214, v170
	v_lshrrev_b32_e32 v170, 16, v214
	v_fma_f16 v171, v214, 2.0, -v169
	v_sub_f16_e32 v115, v170, v115
	v_fma_f16 v170, v170, 2.0, -v115
	v_pack_b32_f16 v115, v169, v115
	v_pack_b32_f16 v169, v171, v170
	ds_write2_b32 v172, v169, v115 offset1:2
	s_waitcnt lgkmcnt(0)
	s_barrier
	buffer_gl0_inv
	ds_read2_b32 v[169:170], v75 offset0:116 offset1:179
	s_waitcnt lgkmcnt(0)
	v_lshrrev_b32_e32 v115, 16, v169
	v_mul_f16_sdwa v171, v146, v169 dst_sel:DWORD dst_unused:UNUSED_PAD src0_sel:WORD_1 src1_sel:DWORD
	v_fma_f16 v173, v146, v115, -v171
	ds_read2_b32 v[171:172], v89 offset1:63
	v_mul_f16_sdwa v115, v146, v115 dst_sel:DWORD dst_unused:UNUSED_PAD src0_sel:WORD_1 src1_sel:DWORD
	v_fmac_f16_e32 v115, v146, v169
	s_waitcnt lgkmcnt(0)
	v_lshrrev_b32_e32 v169, 16, v171
	v_sub_f16_e32 v115, v171, v115
	v_sub_f16_e32 v173, v169, v173
	v_fma_f16 v169, v169, 2.0, -v173
	v_pack_b32_f16 v193, v115, v173
	v_fma_f16 v115, v171, 2.0, -v115
	ds_read2_b32 v[173:174], v89 offset0:126 offset1:189
	ds_read2_b32 v[175:176], v83 offset0:114 offset1:177
	;; [unrolled: 1-line block ×10, first 2 shown]
	s_waitcnt lgkmcnt(0)
	s_barrier
	buffer_gl0_inv
	v_pack_b32_f16 v115, v115, v169
	v_mul_f16_sdwa v169, v144, v170 dst_sel:DWORD dst_unused:UNUSED_PAD src0_sel:WORD_1 src1_sel:DWORD
	ds_write2_b32 v168, v115, v193 offset1:4
	v_lshrrev_b32_e32 v115, 16, v170
	v_mul_f16_sdwa v168, v144, v115 dst_sel:DWORD dst_unused:UNUSED_PAD src0_sel:WORD_1 src1_sel:DWORD
	v_fma_f16 v115, v166, v115, -v169
	v_fmac_f16_e32 v168, v166, v170
	v_sub_f16_e32 v166, v172, v168
	v_lshrrev_b32_e32 v168, 16, v172
	v_fma_f16 v169, v172, 2.0, -v166
	v_sub_f16_e32 v115, v168, v115
	v_fma_f16 v168, v168, 2.0, -v115
	v_pack_b32_f16 v115, v166, v115
	v_pack_b32_f16 v166, v169, v168
	ds_write2_b32 v167, v166, v115 offset1:4
	v_lshrrev_b32_e32 v115, 16, v175
	v_mul_f16_sdwa v166, v142, v175 dst_sel:DWORD dst_unused:UNUSED_PAD src0_sel:WORD_1 src1_sel:DWORD
	v_fma_f16 v166, v163, v115, -v166
	v_mul_f16_sdwa v115, v142, v115 dst_sel:DWORD dst_unused:UNUSED_PAD src0_sel:WORD_1 src1_sel:DWORD
	v_fmac_f16_e32 v115, v163, v175
	v_lshrrev_b32_e32 v163, 16, v173
	v_sub_f16_e32 v115, v173, v115
	v_sub_f16_e32 v166, v163, v166
	v_fma_f16 v163, v163, 2.0, -v166
	v_pack_b32_f16 v166, v115, v166
	v_fma_f16 v115, v173, 2.0, -v115
	v_pack_b32_f16 v115, v115, v163
	ds_write2_b32 v165, v115, v166 offset1:4
	v_lshrrev_b32_e32 v115, 16, v176
	v_mul_f16_sdwa v165, v141, v176 dst_sel:DWORD dst_unused:UNUSED_PAD src0_sel:WORD_1 src1_sel:DWORD
	v_mul_f16_sdwa v163, v141, v115 dst_sel:DWORD dst_unused:UNUSED_PAD src0_sel:WORD_1 src1_sel:DWORD
	v_fma_f16 v115, v161, v115, -v165
	v_fmac_f16_e32 v163, v161, v176
	v_sub_f16_e32 v161, v174, v163
	v_lshrrev_b32_e32 v163, 16, v174
	v_fma_f16 v165, v174, 2.0, -v161
	v_sub_f16_e32 v115, v163, v115
	v_fma_f16 v163, v163, 2.0, -v115
	v_pack_b32_f16 v115, v161, v115
	v_pack_b32_f16 v161, v165, v163
	v_lshrrev_b32_e32 v163, 16, v177
	ds_write2_b32 v164, v161, v115 offset1:4
	v_lshrrev_b32_e32 v115, 16, v179
	v_mul_f16_sdwa v161, v146, v179 dst_sel:DWORD dst_unused:UNUSED_PAD src0_sel:WORD_1 src1_sel:DWORD
	v_fma_f16 v161, v146, v115, -v161
	v_mul_f16_sdwa v115, v146, v115 dst_sel:DWORD dst_unused:UNUSED_PAD src0_sel:WORD_1 src1_sel:DWORD
	v_sub_f16_e32 v161, v163, v161
	v_fmac_f16_e32 v115, v146, v179
	v_fma_f16 v163, v163, 2.0, -v161
	v_sub_f16_e32 v115, v177, v115
	v_fma_f16 v164, v177, 2.0, -v115
	v_pack_b32_f16 v115, v115, v161
	v_pack_b32_f16 v163, v164, v163
	ds_write2_b32 v162, v163, v115 offset1:4
	v_lshrrev_b32_e32 v115, 16, v180
	v_mul_f16_e32 v161, v155, v115
	v_mul_f16_e32 v155, v155, v180
	v_fmac_f16_e32 v161, v159, v180
	v_fma_f16 v115, v159, v115, -v155
	v_lshrrev_b32_e32 v159, 16, v178
	v_sub_f16_e32 v155, v178, v161
	v_sub_f16_e32 v115, v159, v115
	v_fma_f16 v161, v178, 2.0, -v155
	v_fma_f16 v159, v159, 2.0, -v115
	v_pack_b32_f16 v115, v155, v115
	v_mul_f16_e32 v155, v153, v183
	v_pack_b32_f16 v159, v161, v159
	ds_write2_b32 v160, v159, v115 offset1:4
	v_lshrrev_b32_e32 v115, 16, v183
	v_mul_f16_e32 v153, v153, v115
	v_fma_f16 v115, v156, v115, -v155
	v_lshrrev_b32_e32 v155, 16, v181
	v_fmac_f16_e32 v153, v156, v183
	v_sub_f16_e32 v115, v155, v115
	v_sub_f16_e32 v153, v181, v153
	v_fma_f16 v155, v155, 2.0, -v115
	v_fma_f16 v156, v181, 2.0, -v153
	v_pack_b32_f16 v115, v153, v115
	v_pack_b32_f16 v155, v156, v155
	ds_write2_b32 v158, v155, v115 offset1:4
	v_lshrrev_b32_e32 v115, 16, v184
	v_mul_f16_e32 v153, v150, v115
	v_mul_f16_e32 v150, v150, v184
	v_fmac_f16_e32 v153, v152, v184
	v_fma_f16 v115, v152, v115, -v150
	v_lshrrev_b32_e32 v152, 16, v182
	v_sub_f16_e32 v150, v182, v153
	v_sub_f16_e32 v115, v152, v115
	v_fma_f16 v153, v182, 2.0, -v150
	v_fma_f16 v152, v152, 2.0, -v115
	v_pack_b32_f16 v115, v150, v115
	v_mul_f16_sdwa v150, v146, v187 dst_sel:DWORD dst_unused:UNUSED_PAD src0_sel:WORD_1 src1_sel:DWORD
	v_pack_b32_f16 v152, v153, v152
	ds_write2_b32 v157, v152, v115 offset1:4
	v_lshrrev_b32_e32 v115, 16, v187
	v_fma_f16 v150, v146, v115, -v150
	v_mul_f16_sdwa v115, v146, v115 dst_sel:DWORD dst_unused:UNUSED_PAD src0_sel:WORD_1 src1_sel:DWORD
	v_fmac_f16_e32 v115, v146, v187
	v_lshrrev_b32_e32 v146, 16, v185
	v_sub_f16_e32 v115, v185, v115
	v_sub_f16_e32 v150, v146, v150
	v_fma_f16 v152, v185, 2.0, -v115
	v_fma_f16 v146, v146, 2.0, -v150
	v_pack_b32_f16 v115, v115, v150
	v_pack_b32_f16 v146, v152, v146
	ds_write2_b32 v154, v146, v115 offset1:4
	v_lshrrev_b32_e32 v115, 16, v188
	v_mul_f16_e32 v146, v147, v115
	v_mul_f16_e32 v147, v147, v188
	v_fmac_f16_e32 v146, v144, v188
	v_fma_f16 v115, v144, v115, -v147
	v_sub_f16_e32 v144, v186, v146
	v_lshrrev_b32_e32 v146, 16, v186
	v_fma_f16 v147, v186, 2.0, -v144
	v_sub_f16_e32 v115, v146, v115
	v_fma_f16 v146, v146, 2.0, -v115
	v_pack_b32_f16 v115, v144, v115
	v_mul_f16_e32 v144, v145, v191
	v_pack_b32_f16 v146, v147, v146
	ds_write2_b32 v151, v146, v115 offset1:4
	v_lshrrev_b32_e32 v115, 16, v191
	v_mul_f16_e32 v145, v145, v115
	v_fma_f16 v115, v142, v115, -v144
	v_fmac_f16_e32 v145, v142, v191
	v_lshrrev_b32_e32 v142, 16, v189
	v_sub_f16_e32 v144, v189, v145
	v_sub_f16_e32 v115, v142, v115
	v_fma_f16 v145, v189, 2.0, -v144
	v_fma_f16 v142, v142, 2.0, -v115
	v_pack_b32_f16 v115, v144, v115
	v_pack_b32_f16 v142, v145, v142
	ds_write2_b32 v149, v142, v115 offset1:4
	v_lshrrev_b32_e32 v115, 16, v192
	v_mul_f16_e32 v142, v143, v115
	v_mul_f16_e32 v143, v143, v192
	v_fmac_f16_e32 v142, v141, v192
	v_fma_f16 v115, v141, v115, -v143
	v_sub_f16_e32 v141, v190, v142
	v_lshrrev_b32_e32 v142, 16, v190
	v_fma_f16 v143, v190, 2.0, -v141
	v_sub_f16_e32 v115, v142, v115
	v_fma_f16 v142, v142, 2.0, -v115
	v_pack_b32_f16 v115, v141, v115
	v_pack_b32_f16 v142, v143, v142
	ds_write2_b32 v148, v142, v115 offset1:4
	s_waitcnt lgkmcnt(0)
	s_barrier
	buffer_gl0_inv
	ds_read2_b32 v[141:142], v117 offset0:120 offset1:183
	s_waitcnt lgkmcnt(0)
	v_lshrrev_b32_e32 v115, 16, v141
	v_mul_f16_sdwa v143, v67, v141 dst_sel:DWORD dst_unused:UNUSED_PAD src0_sel:WORD_1 src1_sel:DWORD
	v_fma_f16 v145, v67, v115, -v143
	ds_read2_b32 v[143:144], v85 offset0:112 offset1:175
	v_mul_f16_sdwa v115, v67, v115 dst_sel:DWORD dst_unused:UNUSED_PAD src0_sel:WORD_1 src1_sel:DWORD
	v_fmac_f16_e32 v115, v67, v141
	v_lshrrev_b32_e32 v67, 16, v142
	v_mul_f16_sdwa v141, v65, v67 dst_sel:DWORD dst_unused:UNUSED_PAD src0_sel:WORD_1 src1_sel:DWORD
	v_fmac_f16_e32 v141, v65, v142
	s_waitcnt lgkmcnt(0)
	v_lshrrev_b32_e32 v146, 16, v143
	v_mul_f16_sdwa v147, v68, v143 dst_sel:DWORD dst_unused:UNUSED_PAD src0_sel:WORD_1 src1_sel:DWORD
	v_fma_f16 v147, v68, v146, -v147
	v_mul_f16_sdwa v146, v68, v146 dst_sel:DWORD dst_unused:UNUSED_PAD src0_sel:WORD_1 src1_sel:DWORD
	v_fmac_f16_e32 v146, v68, v143
	v_mul_f16_sdwa v68, v65, v142 dst_sel:DWORD dst_unused:UNUSED_PAD src0_sel:WORD_1 src1_sel:DWORD
	v_lshrrev_b32_e32 v142, 16, v144
	v_fma_f16 v148, v65, v67, -v68
	v_mul_f16_sdwa v143, v66, v142 dst_sel:DWORD dst_unused:UNUSED_PAD src0_sel:WORD_1 src1_sel:DWORD
	v_fmac_f16_e32 v143, v66, v144
	v_mul_f16_sdwa v144, v66, v144 dst_sel:DWORD dst_unused:UNUSED_PAD src0_sel:WORD_1 src1_sel:DWORD
	v_fma_f16 v142, v66, v142, -v144
	ds_read2_b32 v[65:66], v86 offset0:118 offset1:181
	s_waitcnt lgkmcnt(0)
	v_lshrrev_b32_e32 v67, 16, v65
	v_mul_f16_sdwa v68, v63, v65 dst_sel:DWORD dst_unused:UNUSED_PAD src0_sel:WORD_1 src1_sel:DWORD
	v_mul_f16_sdwa v149, v63, v67 dst_sel:DWORD dst_unused:UNUSED_PAD src0_sel:WORD_1 src1_sel:DWORD
	v_fma_f16 v144, v63, v67, -v68
	ds_read2_b32 v[67:68], v84 offset0:110 offset1:173
	v_fmac_f16_e32 v149, v63, v65
	v_lshrrev_b32_e32 v63, 16, v66
	v_mul_f16_sdwa v65, v61, v63 dst_sel:DWORD dst_unused:UNUSED_PAD src0_sel:WORD_1 src1_sel:DWORD
	v_fmac_f16_e32 v65, v61, v66
	s_waitcnt lgkmcnt(0)
	v_lshrrev_b32_e32 v150, 16, v67
	v_mul_f16_sdwa v151, v64, v67 dst_sel:DWORD dst_unused:UNUSED_PAD src0_sel:WORD_1 src1_sel:DWORD
	v_fma_f16 v151, v64, v150, -v151
	v_mul_f16_sdwa v150, v64, v150 dst_sel:DWORD dst_unused:UNUSED_PAD src0_sel:WORD_1 src1_sel:DWORD
	v_fmac_f16_e32 v150, v64, v67
	v_mul_f16_sdwa v64, v61, v66 dst_sel:DWORD dst_unused:UNUSED_PAD src0_sel:WORD_1 src1_sel:DWORD
	v_lshrrev_b32_e32 v66, 16, v68
	v_fma_f16 v152, v61, v63, -v64
	v_mul_f16_sdwa v67, v62, v66 dst_sel:DWORD dst_unused:UNUSED_PAD src0_sel:WORD_1 src1_sel:DWORD
	v_fmac_f16_e32 v67, v62, v68
	v_mul_f16_sdwa v68, v62, v68 dst_sel:DWORD dst_unused:UNUSED_PAD src0_sel:WORD_1 src1_sel:DWORD
	v_fma_f16 v66, v62, v66, -v68
	ds_read2_b32 v[61:62], v75 offset0:116 offset1:179
	s_waitcnt lgkmcnt(0)
	v_lshrrev_b32_e32 v63, 16, v61
	v_mul_f16_sdwa v64, v59, v61 dst_sel:DWORD dst_unused:UNUSED_PAD src0_sel:WORD_1 src1_sel:DWORD
	v_mul_f16_sdwa v153, v59, v63 dst_sel:DWORD dst_unused:UNUSED_PAD src0_sel:WORD_1 src1_sel:DWORD
	v_fma_f16 v68, v59, v63, -v64
	ds_read2_b32 v[63:64], v116 offset0:108 offset1:171
	;; [unrolled: 24-line block ×3, first 2 shown]
	v_fmac_f16_e32 v157, v55, v57
	v_lshrrev_b32_e32 v55, 16, v58
	v_mul_f16_sdwa v160, v53, v55 dst_sel:DWORD dst_unused:UNUSED_PAD src0_sel:WORD_1 src1_sel:DWORD
	v_fmac_f16_e32 v160, v53, v58
	s_waitcnt lgkmcnt(0)
	v_lshrrev_b32_e32 v158, 16, v59
	v_mul_f16_sdwa v159, v56, v59 dst_sel:DWORD dst_unused:UNUSED_PAD src0_sel:WORD_1 src1_sel:DWORD
	v_lshrrev_b32_e32 v57, 16, v60
	v_fma_f16 v159, v56, v158, -v159
	v_mul_f16_sdwa v158, v56, v158 dst_sel:DWORD dst_unused:UNUSED_PAD src0_sel:WORD_1 src1_sel:DWORD
	v_mul_f16_sdwa v161, v54, v57 dst_sel:DWORD dst_unused:UNUSED_PAD src0_sel:WORD_1 src1_sel:DWORD
	v_fmac_f16_e32 v158, v56, v59
	v_mul_f16_sdwa v56, v53, v58 dst_sel:DWORD dst_unused:UNUSED_PAD src0_sel:WORD_1 src1_sel:DWORD
	v_mul_f16_sdwa v58, v54, v60 dst_sel:DWORD dst_unused:UNUSED_PAD src0_sel:WORD_1 src1_sel:DWORD
	v_fmac_f16_e32 v161, v54, v60
	v_fma_f16 v162, v53, v55, -v56
	v_fma_f16 v163, v54, v57, -v58
	ds_read2_b32 v[53:54], v89 offset1:63
	v_add_f16_e32 v56, v145, v147
	v_add_f16_e32 v57, v115, v146
	s_waitcnt lgkmcnt(0)
	v_lshrrev_b32_e32 v164, 16, v53
	v_add_f16_e32 v55, v164, v145
	v_fmac_f16_e32 v164, -0.5, v56
	v_add_f16_e32 v56, v53, v115
	v_sub_f16_e32 v145, v145, v147
	v_sub_f16_e32 v115, v115, v146
	v_add_f16_e32 v55, v55, v147
	v_fma_f16 v53, -0.5, v57, v53
	v_add_f16_e32 v56, v56, v146
	v_pack_b32_f16 v146, v56, v55
	v_fmamk_f16 v55, v145, 0xbaee, v53
	v_fmamk_f16 v56, v115, 0x3aee, v164
	v_fmac_f16_e32 v53, 0x3aee, v145
	v_fmac_f16_e32 v164, 0xbaee, v115
	v_lshrrev_b32_e32 v115, 16, v54
	v_pack_b32_f16 v147, v55, v56
	ds_read2_b32 v[55:56], v89 offset0:126 offset1:189
	ds_read2_b32 v[57:58], v88 offset0:124 offset1:187
	;; [unrolled: 1-line block ×3, first 2 shown]
	v_pack_b32_f16 v53, v53, v164
	s_waitcnt lgkmcnt(0)
	s_barrier
	buffer_gl0_inv
	ds_write2_b32 v135, v146, v147 offset1:8
	ds_write_b32 v135, v53 offset:64
	v_add_f16_e32 v53, v141, v143
	v_add_f16_e32 v135, v54, v141
	;; [unrolled: 1-line block ×3, first 2 shown]
	v_fmac_f16_e32 v54, -0.5, v53
	v_sub_f16_e32 v53, v148, v142
	v_fmamk_f16 v145, v53, 0xbaee, v54
	v_fmac_f16_e32 v54, 0x3aee, v53
	v_add_f16_e32 v53, v148, v142
	v_fmac_f16_e32 v115, -0.5, v53
	v_sub_f16_e32 v53, v141, v143
	v_fmamk_f16 v141, v53, 0x3aee, v115
	v_fmac_f16_e32 v115, 0xbaee, v53
	v_pack_b32_f16 v53, v54, v115
	v_add_f16_e32 v54, v135, v143
	v_add_f16_e32 v115, v146, v142
	;; [unrolled: 1-line block ×3, first 2 shown]
	v_pack_b32_f16 v54, v54, v115
	v_pack_b32_f16 v115, v145, v141
	ds_write2_b32 v134, v54, v115 offset1:8
	ds_write_b32 v134, v53 offset:64
	v_lshrrev_b32_e32 v53, 16, v55
	v_add_f16_e32 v115, v144, v151
	v_sub_f16_e32 v134, v144, v151
	v_sub_f16_e32 v141, v149, v150
	v_add_f16_e32 v54, v53, v144
	v_fmac_f16_e32 v53, -0.5, v115
	v_add_f16_e32 v115, v55, v149
	v_fma_f16 v55, -0.5, v135, v55
	v_add_f16_e32 v54, v54, v151
	v_fmamk_f16 v135, v141, 0x3aee, v53
	v_add_f16_e32 v115, v115, v150
	v_fmac_f16_e32 v53, 0xbaee, v141
	v_pack_b32_f16 v54, v115, v54
	v_fmamk_f16 v115, v134, 0xbaee, v55
	v_fmac_f16_e32 v55, 0x3aee, v134
	v_pack_b32_f16 v115, v115, v135
	v_pack_b32_f16 v53, v55, v53
	v_add_f16_e32 v55, v56, v65
	ds_write2_b32 v130, v54, v115 offset1:8
	ds_write_b32 v130, v53 offset:64
	v_add_f16_e32 v53, v65, v67
	v_lshrrev_b32_e32 v54, 16, v56
	v_fmac_f16_e32 v56, -0.5, v53
	v_sub_f16_e32 v53, v152, v66
	v_add_f16_e32 v130, v54, v152
	v_fmamk_f16 v115, v53, 0xbaee, v56
	v_fmac_f16_e32 v56, 0x3aee, v53
	v_add_f16_e32 v53, v152, v66
	v_fmac_f16_e32 v54, -0.5, v53
	v_sub_f16_e32 v53, v65, v67
	v_fmamk_f16 v65, v53, 0x3aee, v54
	v_fmac_f16_e32 v54, 0xbaee, v53
	v_pack_b32_f16 v53, v56, v54
	v_add_f16_e32 v54, v55, v67
	v_add_f16_e32 v55, v130, v66
	v_sub_f16_e32 v56, v68, v155
	v_sub_f16_e32 v66, v153, v154
	v_pack_b32_f16 v54, v54, v55
	v_pack_b32_f16 v55, v115, v65
	ds_write2_b32 v129, v54, v55 offset1:8
	ds_write_b32 v129, v53 offset:64
	v_lshrrev_b32_e32 v53, 16, v57
	v_add_f16_e32 v55, v68, v155
	v_add_f16_e32 v65, v153, v154
	;; [unrolled: 1-line block ×3, first 2 shown]
	v_fmac_f16_e32 v53, -0.5, v55
	v_add_f16_e32 v55, v57, v153
	v_add_f16_e32 v54, v54, v155
	;; [unrolled: 1-line block ×3, first 2 shown]
	v_pack_b32_f16 v54, v55, v54
	v_fma_f16 v55, -0.5, v65, v57
	v_fmamk_f16 v65, v66, 0x3aee, v53
	v_fmac_f16_e32 v53, 0xbaee, v66
	v_fmamk_f16 v57, v56, 0xbaee, v55
	v_fmac_f16_e32 v55, 0x3aee, v56
	v_pack_b32_f16 v57, v57, v65
	v_pack_b32_f16 v53, v55, v53
	v_add_f16_e32 v55, v58, v61
	ds_write2_b32 v128, v54, v57 offset1:8
	ds_write_b32 v128, v53 offset:64
	v_add_f16_e32 v53, v61, v63
	v_lshrrev_b32_e32 v54, 16, v58
	v_fmac_f16_e32 v58, -0.5, v53
	v_sub_f16_e32 v53, v156, v62
	v_add_f16_e32 v57, v54, v156
	v_fmamk_f16 v56, v53, 0xbaee, v58
	v_fmac_f16_e32 v58, 0x3aee, v53
	v_add_f16_e32 v53, v156, v62
	v_fmac_f16_e32 v54, -0.5, v53
	v_sub_f16_e32 v53, v61, v63
	v_fmamk_f16 v61, v53, 0x3aee, v54
	v_fmac_f16_e32 v54, 0xbaee, v53
	v_pack_b32_f16 v53, v58, v54
	v_add_f16_e32 v54, v55, v63
	v_add_f16_e32 v55, v57, v62
	;; [unrolled: 1-line block ×3, first 2 shown]
	v_sub_f16_e32 v58, v157, v158
	v_pack_b32_f16 v54, v54, v55
	v_pack_b32_f16 v55, v56, v61
	ds_write2_b32 v127, v54, v55 offset1:8
	ds_write_b32 v127, v53 offset:64
	v_lshrrev_b32_e32 v53, 16, v59
	v_add_f16_e32 v55, v64, v159
	v_sub_f16_e32 v56, v64, v159
	v_add_f16_e32 v54, v53, v64
	v_fmac_f16_e32 v53, -0.5, v55
	v_add_f16_e32 v55, v59, v157
	v_add_f16_e32 v54, v54, v159
	;; [unrolled: 1-line block ×3, first 2 shown]
	v_pack_b32_f16 v54, v55, v54
	v_fma_f16 v55, -0.5, v57, v59
	v_fmamk_f16 v59, v58, 0x3aee, v53
	v_fmac_f16_e32 v53, 0xbaee, v58
	v_fmamk_f16 v57, v56, 0xbaee, v55
	v_fmac_f16_e32 v55, 0x3aee, v56
	v_pack_b32_f16 v57, v57, v59
	v_pack_b32_f16 v53, v55, v53
	v_add_f16_e32 v55, v60, v160
	ds_write2_b32 v126, v54, v57 offset1:8
	ds_write_b32 v126, v53 offset:64
	v_add_f16_e32 v53, v160, v161
	v_lshrrev_b32_e32 v54, 16, v60
	v_fmac_f16_e32 v60, -0.5, v53
	v_sub_f16_e32 v53, v162, v163
	v_add_f16_e32 v57, v54, v162
	v_fmamk_f16 v56, v53, 0xbaee, v60
	v_fmac_f16_e32 v60, 0x3aee, v53
	v_add_f16_e32 v53, v162, v163
	v_fmac_f16_e32 v54, -0.5, v53
	v_sub_f16_e32 v53, v160, v161
	v_fmamk_f16 v58, v53, 0x3aee, v54
	v_fmac_f16_e32 v54, 0xbaee, v53
	v_pack_b32_f16 v53, v60, v54
	v_add_f16_e32 v54, v55, v161
	v_add_f16_e32 v55, v57, v163
	v_pack_b32_f16 v54, v54, v55
	v_pack_b32_f16 v55, v56, v58
	ds_write2_b32 v125, v54, v55 offset1:8
	ds_write_b32 v125, v53 offset:64
	s_waitcnt lgkmcnt(0)
	s_barrier
	buffer_gl0_inv
	ds_read2_b32 v[53:54], v117 offset0:120 offset1:183
	s_waitcnt lgkmcnt(0)
	v_lshrrev_b32_e32 v55, 16, v53
	v_mul_f16_sdwa v56, v45, v53 dst_sel:DWORD dst_unused:UNUSED_PAD src0_sel:WORD_1 src1_sel:DWORD
	v_mul_f16_sdwa v58, v45, v55 dst_sel:DWORD dst_unused:UNUSED_PAD src0_sel:WORD_1 src1_sel:DWORD
	v_fma_f16 v57, v45, v55, -v56
	ds_read2_b32 v[55:56], v85 offset0:112 offset1:175
	v_fmac_f16_e32 v58, v45, v53
	v_lshrrev_b32_e32 v45, 16, v54
	v_mul_f16_sdwa v53, v43, v45 dst_sel:DWORD dst_unused:UNUSED_PAD src0_sel:WORD_1 src1_sel:DWORD
	v_fmac_f16_e32 v53, v43, v54
	s_waitcnt lgkmcnt(0)
	v_lshrrev_b32_e32 v59, 16, v55
	v_mul_f16_sdwa v60, v46, v55 dst_sel:DWORD dst_unused:UNUSED_PAD src0_sel:WORD_1 src1_sel:DWORD
	v_fma_f16 v60, v46, v59, -v60
	v_mul_f16_sdwa v59, v46, v59 dst_sel:DWORD dst_unused:UNUSED_PAD src0_sel:WORD_1 src1_sel:DWORD
	v_fmac_f16_e32 v59, v46, v55
	v_mul_f16_sdwa v46, v43, v54 dst_sel:DWORD dst_unused:UNUSED_PAD src0_sel:WORD_1 src1_sel:DWORD
	v_lshrrev_b32_e32 v54, 16, v56
	v_fma_f16 v61, v43, v45, -v46
	v_mul_f16_sdwa v55, v44, v54 dst_sel:DWORD dst_unused:UNUSED_PAD src0_sel:WORD_1 src1_sel:DWORD
	v_fmac_f16_e32 v55, v44, v56
	v_mul_f16_sdwa v56, v44, v56 dst_sel:DWORD dst_unused:UNUSED_PAD src0_sel:WORD_1 src1_sel:DWORD
	v_fma_f16 v54, v44, v54, -v56
	ds_read2_b32 v[43:44], v86 offset0:118 offset1:181
	s_waitcnt lgkmcnt(0)
	v_lshrrev_b32_e32 v45, 16, v43
	v_mul_f16_sdwa v46, v39, v43 dst_sel:DWORD dst_unused:UNUSED_PAD src0_sel:WORD_1 src1_sel:DWORD
	v_mul_f16_sdwa v62, v39, v45 dst_sel:DWORD dst_unused:UNUSED_PAD src0_sel:WORD_1 src1_sel:DWORD
	v_fma_f16 v56, v39, v45, -v46
	ds_read2_b32 v[45:46], v84 offset0:110 offset1:173
	v_fmac_f16_e32 v62, v39, v43
	v_lshrrev_b32_e32 v39, 16, v44
	v_mul_f16_sdwa v43, v33, v39 dst_sel:DWORD dst_unused:UNUSED_PAD src0_sel:WORD_1 src1_sel:DWORD
	v_fmac_f16_e32 v43, v33, v44
	s_waitcnt lgkmcnt(0)
	v_lshrrev_b32_e32 v63, 16, v45
	v_mul_f16_sdwa v64, v40, v45 dst_sel:DWORD dst_unused:UNUSED_PAD src0_sel:WORD_1 src1_sel:DWORD
	v_fma_f16 v64, v40, v63, -v64
	v_mul_f16_sdwa v63, v40, v63 dst_sel:DWORD dst_unused:UNUSED_PAD src0_sel:WORD_1 src1_sel:DWORD
	v_fmac_f16_e32 v63, v40, v45
	v_mul_f16_sdwa v40, v33, v44 dst_sel:DWORD dst_unused:UNUSED_PAD src0_sel:WORD_1 src1_sel:DWORD
	v_lshrrev_b32_e32 v44, 16, v46
	v_fma_f16 v65, v33, v39, -v40
	v_mul_f16_sdwa v45, v34, v44 dst_sel:DWORD dst_unused:UNUSED_PAD src0_sel:WORD_1 src1_sel:DWORD
	v_fmac_f16_e32 v45, v34, v46
	v_mul_f16_sdwa v46, v34, v46 dst_sel:DWORD dst_unused:UNUSED_PAD src0_sel:WORD_1 src1_sel:DWORD
	v_fma_f16 v44, v34, v44, -v46
	ds_read2_b32 v[33:34], v75 offset0:116 offset1:179
	s_waitcnt lgkmcnt(0)
	v_lshrrev_b32_e32 v39, 16, v33
	v_mul_f16_sdwa v40, v29, v33 dst_sel:DWORD dst_unused:UNUSED_PAD src0_sel:WORD_1 src1_sel:DWORD
	v_mul_f16_sdwa v66, v29, v39 dst_sel:DWORD dst_unused:UNUSED_PAD src0_sel:WORD_1 src1_sel:DWORD
	v_fma_f16 v46, v29, v39, -v40
	ds_read2_b32 v[39:40], v116 offset0:108 offset1:171
	v_fmac_f16_e32 v66, v29, v33
	v_lshrrev_b32_e32 v29, 16, v34
	s_waitcnt lgkmcnt(0)
	v_lshrrev_b32_e32 v67, 16, v39
	v_mul_f16_sdwa v68, v30, v39 dst_sel:DWORD dst_unused:UNUSED_PAD src0_sel:WORD_1 src1_sel:DWORD
	v_lshrrev_b32_e32 v33, 16, v40
	v_fma_f16 v68, v30, v67, -v68
	v_mul_f16_sdwa v67, v30, v67 dst_sel:DWORD dst_unused:UNUSED_PAD src0_sel:WORD_1 src1_sel:DWORD
	v_mul_f16_sdwa v115, v28, v33 dst_sel:DWORD dst_unused:UNUSED_PAD src0_sel:WORD_1 src1_sel:DWORD
	v_fmac_f16_e32 v67, v30, v39
	v_mul_f16_sdwa v39, v27, v29 dst_sel:DWORD dst_unused:UNUSED_PAD src0_sel:WORD_1 src1_sel:DWORD
	v_mul_f16_sdwa v30, v27, v34 dst_sel:DWORD dst_unused:UNUSED_PAD src0_sel:WORD_1 src1_sel:DWORD
	v_fmac_f16_e32 v115, v28, v40
	v_fmac_f16_e32 v39, v27, v34
	v_mul_f16_sdwa v34, v28, v40 dst_sel:DWORD dst_unused:UNUSED_PAD src0_sel:WORD_1 src1_sel:DWORD
	v_fma_f16 v40, v27, v29, -v30
	v_fma_f16 v125, v28, v33, -v34
	ds_read2_b32 v[27:28], v83 offset0:114 offset1:177
	s_waitcnt lgkmcnt(0)
	v_lshrrev_b32_e32 v29, 16, v27
	v_mul_f16_sdwa v30, v23, v27 dst_sel:DWORD dst_unused:UNUSED_PAD src0_sel:WORD_1 src1_sel:DWORD
	v_mul_f16_sdwa v127, v23, v29 dst_sel:DWORD dst_unused:UNUSED_PAD src0_sel:WORD_1 src1_sel:DWORD
	v_fma_f16 v126, v23, v29, -v30
	ds_read2_b32 v[29:30], v87 offset0:106 offset1:169
	v_fmac_f16_e32 v127, v23, v27
	v_mul_f16_sdwa v27, v19, v28 dst_sel:DWORD dst_unused:UNUSED_PAD src0_sel:WORD_1 src1_sel:DWORD
	s_waitcnt lgkmcnt(0)
	v_lshrrev_b32_e32 v33, 16, v29
	v_mul_f16_sdwa v34, v24, v29 dst_sel:DWORD dst_unused:UNUSED_PAD src0_sel:WORD_1 src1_sel:DWORD
	v_mul_f16_sdwa v129, v24, v33 dst_sel:DWORD dst_unused:UNUSED_PAD src0_sel:WORD_1 src1_sel:DWORD
	v_fma_f16 v128, v24, v33, -v34
	v_fmac_f16_e32 v129, v24, v29
	v_lshrrev_b32_e32 v24, 16, v28
	v_mul_f16_sdwa v29, v20, v30 dst_sel:DWORD dst_unused:UNUSED_PAD src0_sel:WORD_1 src1_sel:DWORD
	v_mul_f16_sdwa v23, v19, v24 dst_sel:DWORD dst_unused:UNUSED_PAD src0_sel:WORD_1 src1_sel:DWORD
	v_fma_f16 v24, v19, v24, -v27
	v_fmac_f16_e32 v23, v19, v28
	v_lshrrev_b32_e32 v28, 16, v30
	v_mul_f16_sdwa v130, v20, v28 dst_sel:DWORD dst_unused:UNUSED_PAD src0_sel:WORD_1 src1_sel:DWORD
	v_fma_f16 v134, v20, v28, -v29
	v_add_f16_e32 v28, v57, v60
	v_add_f16_e32 v29, v58, v59
	v_fmac_f16_e32 v130, v20, v30
	ds_read2_b32 v[19:20], v89 offset1:63
	s_waitcnt lgkmcnt(0)
	v_lshrrev_b32_e32 v135, 16, v19
	v_add_f16_e32 v27, v135, v57
	v_fmac_f16_e32 v135, -0.5, v28
	v_add_f16_e32 v28, v19, v58
	v_sub_f16_e32 v57, v57, v60
	v_sub_f16_e32 v58, v58, v59
	v_add_f16_e32 v27, v27, v60
	v_fma_f16 v19, -0.5, v29, v19
	v_add_f16_e32 v28, v28, v59
	v_pack_b32_f16 v59, v28, v27
	v_fmamk_f16 v27, v57, 0xbaee, v19
	v_fmamk_f16 v28, v58, 0x3aee, v135
	v_fmac_f16_e32 v19, 0x3aee, v57
	v_fmac_f16_e32 v135, 0xbaee, v58
	v_lshrrev_b32_e32 v57, 16, v20
	v_add_f16_e32 v58, v20, v53
	v_pack_b32_f16 v60, v27, v28
	ds_read2_b32 v[27:28], v89 offset0:126 offset1:189
	ds_read2_b32 v[29:30], v88 offset0:124 offset1:187
	;; [unrolled: 1-line block ×3, first 2 shown]
	v_pack_b32_f16 v19, v19, v135
	s_waitcnt lgkmcnt(0)
	s_barrier
	buffer_gl0_inv
	ds_write2_b32 v139, v59, v60 offset1:24
	ds_write_b32 v139, v19 offset:192
	v_add_f16_e32 v19, v53, v55
	v_add_f16_e32 v60, v57, v61
	v_fmac_f16_e32 v20, -0.5, v19
	v_sub_f16_e32 v19, v61, v54
	v_fmamk_f16 v59, v19, 0xbaee, v20
	v_fmac_f16_e32 v20, 0x3aee, v19
	v_add_f16_e32 v19, v61, v54
	v_add_f16_e32 v54, v60, v54
	v_fmac_f16_e32 v57, -0.5, v19
	v_sub_f16_e32 v19, v53, v55
	v_fmamk_f16 v53, v19, 0x3aee, v57
	v_fmac_f16_e32 v57, 0xbaee, v19
	v_pack_b32_f16 v53, v59, v53
	v_pack_b32_f16 v19, v20, v57
	v_add_f16_e32 v20, v58, v55
	v_add_f16_e32 v55, v62, v63
	v_pack_b32_f16 v20, v20, v54
	ds_write2_b32 v140, v20, v53 offset1:24
	ds_write_b32 v140, v19 offset:192
	v_lshrrev_b32_e32 v19, 16, v27
	v_add_f16_e32 v53, v56, v64
	v_sub_f16_e32 v54, v56, v64
	v_add_f16_e32 v20, v19, v56
	v_fmac_f16_e32 v19, -0.5, v53
	v_add_f16_e32 v53, v27, v62
	v_sub_f16_e32 v56, v62, v63
	v_fma_f16 v27, -0.5, v55, v27
	v_add_f16_e32 v20, v20, v64
	v_add_f16_e32 v53, v53, v63
	v_fmamk_f16 v55, v56, 0x3aee, v19
	v_fmac_f16_e32 v19, 0xbaee, v56
	v_pack_b32_f16 v20, v53, v20
	v_fmamk_f16 v53, v54, 0xbaee, v27
	v_fmac_f16_e32 v27, 0x3aee, v54
	v_pack_b32_f16 v53, v53, v55
	v_pack_b32_f16 v19, v27, v19
	v_add_f16_e32 v27, v28, v43
	ds_write2_b32 v138, v20, v53 offset1:24
	ds_write_b32 v138, v19 offset:192
	v_add_f16_e32 v19, v43, v45
	v_lshrrev_b32_e32 v20, 16, v28
	v_fmac_f16_e32 v28, -0.5, v19
	v_sub_f16_e32 v19, v65, v44
	v_add_f16_e32 v54, v20, v65
	v_fmamk_f16 v53, v19, 0xbaee, v28
	v_fmac_f16_e32 v28, 0x3aee, v19
	v_add_f16_e32 v19, v65, v44
	v_fmac_f16_e32 v20, -0.5, v19
	v_sub_f16_e32 v19, v43, v45
	v_fmamk_f16 v43, v19, 0x3aee, v20
	v_fmac_f16_e32 v20, 0xbaee, v19
	v_pack_b32_f16 v19, v28, v20
	v_add_f16_e32 v20, v27, v45
	v_add_f16_e32 v27, v54, v44
	v_sub_f16_e32 v28, v46, v68
	v_sub_f16_e32 v44, v66, v67
	v_add_f16_e32 v45, v30, v39
	v_pack_b32_f16 v20, v20, v27
	v_pack_b32_f16 v27, v53, v43
	ds_write2_b32 v137, v20, v27 offset1:24
	ds_write_b32 v137, v19 offset:192
	v_lshrrev_b32_e32 v19, 16, v29
	v_add_f16_e32 v27, v46, v68
	v_add_f16_e32 v43, v66, v67
	v_add_f16_e32 v45, v45, v115
	v_add_f16_e32 v20, v19, v46
	v_fmac_f16_e32 v19, -0.5, v27
	v_add_f16_e32 v27, v29, v66
	v_add_f16_e32 v46, v40, v125
	;; [unrolled: 1-line block ×4, first 2 shown]
	v_pack_b32_f16 v20, v27, v20
	v_fma_f16 v27, -0.5, v43, v29
	v_add_f16_e32 v43, v39, v115
	v_sub_f16_e32 v39, v39, v115
	v_fmamk_f16 v29, v28, 0xbaee, v27
	v_fmac_f16_e32 v27, 0x3aee, v28
	v_fmamk_f16 v28, v44, 0x3aee, v19
	v_fmac_f16_e32 v19, 0xbaee, v44
	v_lshrrev_b32_e32 v44, 16, v30
	v_fmac_f16_e32 v30, -0.5, v43
	v_pack_b32_f16 v28, v29, v28
	v_pack_b32_f16 v19, v27, v19
	v_add_f16_e32 v43, v44, v40
	v_sub_f16_e32 v40, v40, v125
	v_fmac_f16_e32 v44, -0.5, v46
	v_add_f16_e32 v43, v43, v125
	v_fmamk_f16 v29, v40, 0xbaee, v30
	v_fmac_f16_e32 v30, 0x3aee, v40
	v_pack_b32_f16 v27, v45, v43
	v_fmamk_f16 v43, v39, 0x3aee, v44
	v_fmac_f16_e32 v44, 0xbaee, v39
	v_pack_b32_f16 v29, v29, v43
	ds_write2_b32 v136, v20, v28 offset1:24
	ds_write_b32 v136, v19 offset:192
	ds_write2_b32 v133, v27, v29 offset1:24
	v_add_f16_e32 v19, v127, v129
	v_lshrrev_b32_e32 v20, 16, v33
	v_add_f16_e32 v27, v126, v128
	v_add_f16_e32 v28, v33, v127
	v_sub_f16_e32 v29, v126, v128
	v_fma_f16 v19, -0.5, v19, v33
	v_add_f16_e32 v33, v20, v126
	v_fmac_f16_e32 v20, -0.5, v27
	v_add_f16_e32 v27, v28, v129
	v_sub_f16_e32 v28, v127, v129
	v_fmamk_f16 v39, v29, 0xbaee, v19
	v_fmac_f16_e32 v19, 0x3aee, v29
	v_add_f16_e32 v29, v33, v128
	v_add_f16_e32 v33, v23, v130
	v_fmamk_f16 v40, v28, 0x3aee, v20
	v_fmac_f16_e32 v20, 0xbaee, v28
	v_lshrrev_b32_e32 v28, 16, v34
	v_add_f16_e32 v43, v24, v134
	v_pack_b32_f16 v30, v30, v44
	v_add_f16_e32 v44, v34, v23
	v_fmac_f16_e32 v34, -0.5, v33
	v_sub_f16_e32 v33, v24, v134
	v_add_f16_e32 v24, v28, v24
	v_fmac_f16_e32 v28, -0.5, v43
	v_sub_f16_e32 v23, v23, v130
	v_add_f16_e32 v43, v44, v130
	v_fmamk_f16 v44, v33, 0xbaee, v34
	v_fmac_f16_e32 v34, 0x3aee, v33
	v_add_f16_e32 v24, v24, v134
	v_fmamk_f16 v33, v23, 0x3aee, v28
	v_fmac_f16_e32 v28, 0xbaee, v23
	v_pack_b32_f16 v23, v27, v29
	v_pack_b32_f16 v27, v39, v40
	;; [unrolled: 1-line block ×6, first 2 shown]
	ds_write_b32 v133, v30 offset:192
	ds_write2_b32 v132, v23, v27 offset1:24
	ds_write_b32 v132, v19 offset:192
	ds_write2_b32 v131, v20, v24 offset1:24
	ds_write_b32 v131, v28 offset:192
	s_waitcnt lgkmcnt(0)
	s_barrier
	buffer_gl0_inv
	ds_read2_b32 v[23:24], v117 offset0:120 offset1:183
	ds_read2_b32 v[27:28], v85 offset0:112 offset1:175
	;; [unrolled: 1-line block ×4, first 2 shown]
	s_waitcnt lgkmcnt(3)
	v_lshrrev_b32_e32 v19, 16, v23
	s_waitcnt lgkmcnt(2)
	v_lshrrev_b32_e32 v20, 16, v27
	v_mul_f16_sdwa v45, v52, v27 dst_sel:DWORD dst_unused:UNUSED_PAD src0_sel:WORD_1 src1_sel:DWORD
	v_lshrrev_b32_e32 v29, 16, v24
	v_mul_f16_sdwa v33, v51, v23 dst_sel:DWORD dst_unused:UNUSED_PAD src0_sel:WORD_1 src1_sel:DWORD
	v_mul_f16_sdwa v54, v51, v19 dst_sel:DWORD dst_unused:UNUSED_PAD src0_sel:WORD_1 src1_sel:DWORD
	;; [unrolled: 1-line block ×3, first 2 shown]
	v_fma_f16 v57, v52, v20, -v45
	ds_read2_b32 v[45:46], v75 offset0:116 offset1:179
	v_lshrrev_b32_e32 v30, 16, v28
	v_fma_f16 v55, v51, v19, -v33
	v_mul_f16_sdwa v19, v49, v29 dst_sel:DWORD dst_unused:UNUSED_PAD src0_sel:WORD_1 src1_sel:DWORD
	v_fmac_f16_e32 v54, v51, v23
	v_fmac_f16_e32 v56, v52, v27
	ds_read2_b32 v[51:52], v116 offset0:108 offset1:171
	s_waitcnt lgkmcnt(3)
	v_lshrrev_b32_e32 v34, 16, v39
	v_mul_f16_sdwa v20, v49, v24 dst_sel:DWORD dst_unused:UNUSED_PAD src0_sel:WORD_1 src1_sel:DWORD
	v_fmac_f16_e32 v19, v49, v24
	v_mul_f16_sdwa v23, v50, v30 dst_sel:DWORD dst_unused:UNUSED_PAD src0_sel:WORD_1 src1_sel:DWORD
	v_mul_f16_sdwa v24, v50, v28 dst_sel:DWORD dst_unused:UNUSED_PAD src0_sel:WORD_1 src1_sel:DWORD
	s_waitcnt lgkmcnt(2)
	v_lshrrev_b32_e32 v53, 16, v43
	v_fma_f16 v33, v49, v29, -v20
	v_lshrrev_b32_e32 v49, 16, v40
	v_fmac_f16_e32 v23, v50, v28
	v_mul_f16_sdwa v20, v47, v39 dst_sel:DWORD dst_unused:UNUSED_PAD src0_sel:WORD_1 src1_sel:DWORD
	v_fma_f16 v29, v50, v30, -v24
	v_mul_f16_sdwa v24, v48, v43 dst_sel:DWORD dst_unused:UNUSED_PAD src0_sel:WORD_1 src1_sel:DWORD
	v_lshrrev_b32_e32 v50, 16, v44
	v_mul_f16_sdwa v28, v47, v34 dst_sel:DWORD dst_unused:UNUSED_PAD src0_sel:WORD_1 src1_sel:DWORD
	v_fma_f16 v34, v47, v34, -v20
	v_mul_f16_sdwa v30, v48, v53 dst_sel:DWORD dst_unused:UNUSED_PAD src0_sel:WORD_1 src1_sel:DWORD
	v_fma_f16 v27, v48, v53, -v24
	v_mul_f16_sdwa v20, v37, v49 dst_sel:DWORD dst_unused:UNUSED_PAD src0_sel:WORD_1 src1_sel:DWORD
	s_waitcnt lgkmcnt(1)
	v_lshrrev_b32_e32 v53, 16, v45
	v_fmac_f16_e32 v28, v47, v39
	v_mul_f16_sdwa v39, v37, v40 dst_sel:DWORD dst_unused:UNUSED_PAD src0_sel:WORD_1 src1_sel:DWORD
	v_mul_f16_sdwa v24, v38, v50 dst_sel:DWORD dst_unused:UNUSED_PAD src0_sel:WORD_1 src1_sel:DWORD
	;; [unrolled: 1-line block ×3, first 2 shown]
	v_fmac_f16_e32 v30, v48, v43
	v_fmac_f16_e32 v20, v37, v40
	s_waitcnt lgkmcnt(0)
	v_lshrrev_b32_e32 v40, 16, v51
	v_fma_f16 v37, v37, v49, -v39
	v_lshrrev_b32_e32 v49, 16, v46
	v_fmac_f16_e32 v24, v38, v44
	v_mul_f16_sdwa v39, v31, v53 dst_sel:DWORD dst_unused:UNUSED_PAD src0_sel:WORD_1 src1_sel:DWORD
	v_fma_f16 v50, v38, v50, -v47
	ds_read2_b32 v[47:48], v87 offset0:106 offset1:169
	v_mul_f16_sdwa v38, v31, v45 dst_sel:DWORD dst_unused:UNUSED_PAD src0_sel:WORD_1 src1_sel:DWORD
	ds_read2_b32 v[43:44], v83 offset0:114 offset1:177
	v_mul_f16_sdwa v59, v32, v51 dst_sel:DWORD dst_unused:UNUSED_PAD src0_sel:WORD_1 src1_sel:DWORD
	v_fmac_f16_e32 v39, v31, v45
	v_mul_f16_sdwa v60, v32, v40 dst_sel:DWORD dst_unused:UNUSED_PAD src0_sel:WORD_1 src1_sel:DWORD
	v_fma_f16 v53, v31, v53, -v38
	v_mul_f16_sdwa v31, v25, v49 dst_sel:DWORD dst_unused:UNUSED_PAD src0_sel:WORD_1 src1_sel:DWORD
	v_lshrrev_b32_e32 v58, 16, v52
	v_fma_f16 v40, v32, v40, -v59
	v_fmac_f16_e32 v60, v32, v51
	v_mul_f16_sdwa v32, v25, v46 dst_sel:DWORD dst_unused:UNUSED_PAD src0_sel:WORD_1 src1_sel:DWORD
	v_fmac_f16_e32 v31, v25, v46
	ds_read2_b32 v[45:46], v89 offset1:63
	v_mul_f16_sdwa v38, v26, v58 dst_sel:DWORD dst_unused:UNUSED_PAD src0_sel:WORD_1 src1_sel:DWORD
	v_mul_f16_sdwa v51, v26, v52 dst_sel:DWORD dst_unused:UNUSED_PAD src0_sel:WORD_1 src1_sel:DWORD
	v_fma_f16 v32, v25, v49, -v32
	v_fmac_f16_e32 v38, v26, v52
	v_fma_f16 v51, v26, v58, -v51
	s_waitcnt lgkmcnt(2)
	v_lshrrev_b32_e32 v26, 16, v47
	s_waitcnt lgkmcnt(1)
	v_lshrrev_b32_e32 v25, 16, v43
	v_mul_f16_sdwa v52, v22, v47 dst_sel:DWORD dst_unused:UNUSED_PAD src0_sel:WORD_1 src1_sel:DWORD
	v_lshrrev_b32_e32 v58, 16, v44
	v_mul_f16_sdwa v49, v21, v43 dst_sel:DWORD dst_unused:UNUSED_PAD src0_sel:WORD_1 src1_sel:DWORD
	v_mul_f16_sdwa v61, v22, v26 dst_sel:DWORD dst_unused:UNUSED_PAD src0_sel:WORD_1 src1_sel:DWORD
	;; [unrolled: 1-line block ×3, first 2 shown]
	v_fma_f16 v52, v22, v26, -v52
	v_mul_f16_sdwa v62, v17, v58 dst_sel:DWORD dst_unused:UNUSED_PAD src0_sel:WORD_1 src1_sel:DWORD
	v_fma_f16 v49, v21, v25, -v49
	v_fmac_f16_e32 v61, v22, v47
	v_add_f16_e32 v22, v55, v57
	s_waitcnt lgkmcnt(0)
	v_lshrrev_b32_e32 v47, 16, v45
	v_lshrrev_b32_e32 v25, 16, v48
	v_fmac_f16_e32 v59, v21, v43
	v_fmac_f16_e32 v62, v17, v44
	v_mul_f16_sdwa v21, v17, v44 dst_sel:DWORD dst_unused:UNUSED_PAD src0_sel:WORD_1 src1_sel:DWORD
	v_add_f16_e32 v26, v54, v56
	v_add_f16_e32 v44, v47, v55
	v_fmac_f16_e32 v47, -0.5, v22
	v_add_f16_e32 v22, v45, v54
	v_mul_f16_sdwa v43, v18, v25 dst_sel:DWORD dst_unused:UNUSED_PAD src0_sel:WORD_1 src1_sel:DWORD
	v_fma_f16 v45, -0.5, v26, v45
	v_mul_f16_sdwa v26, v18, v48 dst_sel:DWORD dst_unused:UNUSED_PAD src0_sel:WORD_1 src1_sel:DWORD
	v_add_f16_e32 v44, v44, v57
	v_add_f16_e32 v22, v22, v56
	v_sub_f16_e32 v55, v55, v57
	v_sub_f16_e32 v54, v54, v56
	v_fmac_f16_e32 v43, v18, v48
	v_fma_f16 v57, v17, v58, -v21
	v_fma_f16 v58, v18, v25, -v26
	v_pack_b32_f16 v44, v22, v44
	ds_read2_b32 v[21:22], v88 offset0:124 offset1:187
	ds_read2_b32 v[25:26], v89 offset0:126 offset1:189
	ds_read2_b32 v[17:18], v82 offset0:122 offset1:185
	v_fmamk_f16 v48, v55, 0xbaee, v45
	v_fmamk_f16 v56, v54, 0x3aee, v47
	s_waitcnt lgkmcnt(0)
	s_barrier
	buffer_gl0_inv
	v_fmac_f16_e32 v45, 0x3aee, v55
	v_pack_b32_f16 v48, v48, v56
	v_add_f16_e32 v55, v33, v29
	v_add_f16_e32 v56, v28, v30
	v_fmac_f16_e32 v47, 0xbaee, v54
	v_add_f16_e32 v54, v46, v19
	ds_write2_b32 v89, v44, v48 offset1:72
	v_add_f16_e32 v44, v19, v23
	v_lshrrev_b32_e32 v48, 16, v46
	v_sub_f16_e32 v19, v19, v23
	v_add_f16_e32 v54, v54, v23
	v_fmac_f16_e32 v46, -0.5, v44
	v_add_f16_e32 v44, v48, v33
	v_sub_f16_e32 v33, v33, v29
	v_fmac_f16_e32 v48, -0.5, v55
	v_fma_f16 v55, -0.5, v56, v25
	v_sub_f16_e32 v56, v34, v27
	v_add_f16_e32 v29, v44, v29
	v_fmamk_f16 v23, v33, 0xbaee, v46
	v_fmac_f16_e32 v46, 0x3aee, v33
	v_fmamk_f16 v33, v19, 0x3aee, v48
	v_fmac_f16_e32 v48, 0xbaee, v19
	;; [unrolled: 2-line block ×3, first 2 shown]
	v_lshrrev_b32_e32 v56, 16, v25
	v_add_f16_e32 v19, v34, v27
	v_add_f16_e32 v25, v25, v28
	v_pack_b32_f16 v29, v54, v29
	v_pack_b32_f16 v23, v23, v33
	v_add_f16_e32 v34, v56, v34
	v_fmac_f16_e32 v56, -0.5, v19
	v_sub_f16_e32 v19, v28, v30
	v_pack_b32_f16 v28, v45, v47
	v_add_f16_e32 v25, v25, v30
	ds_write_b32 v89, v28 offset:576
	ds_write2_b32 v123, v29, v23 offset1:72
	v_fmamk_f16 v30, v19, 0x3aee, v56
	v_fmac_f16_e32 v56, 0xbaee, v19
	v_add_f16_e32 v19, v20, v24
	v_lshrrev_b32_e32 v23, 16, v26
	v_add_f16_e32 v29, v37, v50
	v_add_f16_e32 v27, v34, v27
	;; [unrolled: 1-line block ×3, first 2 shown]
	v_fmac_f16_e32 v26, -0.5, v19
	v_sub_f16_e32 v19, v37, v50
	v_add_f16_e32 v34, v23, v37
	v_fmac_f16_e32 v23, -0.5, v29
	v_sub_f16_e32 v20, v20, v24
	v_lshrrev_b32_e32 v29, 16, v21
	v_add_f16_e32 v33, v33, v24
	v_fmamk_f16 v24, v19, 0xbaee, v26
	v_fmac_f16_e32 v26, 0x3aee, v19
	v_add_f16_e32 v19, v53, v40
	v_add_f16_e32 v37, v39, v60
	v_fmamk_f16 v47, v20, 0x3aee, v23
	v_fmac_f16_e32 v23, 0xbaee, v20
	v_add_f16_e32 v20, v21, v39
	v_add_f16_e32 v45, v29, v53
	v_fma_f16 v21, -0.5, v37, v21
	v_sub_f16_e32 v37, v53, v40
	v_fmac_f16_e32 v29, -0.5, v19
	v_sub_f16_e32 v19, v39, v60
	v_add_f16_e32 v39, v20, v60
	v_add_f16_e32 v20, v31, v38
	v_pack_b32_f16 v28, v46, v48
	v_add_f16_e32 v34, v34, v50
	v_fmamk_f16 v48, v37, 0xbaee, v21
	v_fmac_f16_e32 v21, 0x3aee, v37
	v_add_f16_e32 v37, v45, v40
	v_fmamk_f16 v40, v19, 0x3aee, v29
	v_fmac_f16_e32 v29, 0xbaee, v19
	v_lshrrev_b32_e32 v50, 16, v22
	v_add_f16_e32 v19, v32, v51
	v_add_f16_e32 v45, v22, v31
	v_fmac_f16_e32 v22, -0.5, v20
	v_sub_f16_e32 v20, v32, v51
	v_add_f16_e32 v32, v50, v32
	v_fmac_f16_e32 v50, -0.5, v19
	v_sub_f16_e32 v19, v31, v38
	v_add_f16_e32 v31, v45, v38
	v_fmamk_f16 v38, v20, 0xbaee, v22
	v_fmac_f16_e32 v22, 0x3aee, v20
	v_add_f16_e32 v20, v59, v61
	v_lshrrev_b32_e32 v53, 16, v17
	v_add_f16_e32 v32, v32, v51
	v_fmamk_f16 v51, v19, 0x3aee, v50
	v_fmac_f16_e32 v50, 0xbaee, v19
	v_add_f16_e32 v19, v49, v52
	v_add_f16_e32 v45, v17, v59
	v_fma_f16 v54, -0.5, v20, v17
	v_sub_f16_e32 v17, v49, v52
	v_add_f16_e32 v20, v53, v49
	v_fmac_f16_e32 v53, -0.5, v19
	v_add_f16_e32 v49, v45, v61
	v_sub_f16_e32 v19, v59, v61
	v_fmamk_f16 v59, v17, 0xbaee, v54
	v_fmac_f16_e32 v54, 0x3aee, v17
	v_add_f16_e32 v17, v62, v43
	v_add_f16_e32 v52, v20, v52
	v_lshrrev_b32_e32 v45, 16, v18
	v_add_f16_e32 v20, v18, v62
	v_add_f16_e32 v46, v57, v58
	v_pack_b32_f16 v25, v25, v27
	v_pack_b32_f16 v27, v44, v30
	v_pack_b32_f16 v30, v55, v56
	v_fmamk_f16 v60, v19, 0x3aee, v53
	v_fmac_f16_e32 v18, -0.5, v17
	v_sub_f16_e32 v17, v57, v58
	v_fmac_f16_e32 v53, 0xbaee, v19
	v_add_f16_e32 v19, v20, v43
	v_add_f16_e32 v57, v45, v57
	v_fmac_f16_e32 v45, -0.5, v46
	v_sub_f16_e32 v43, v62, v43
	ds_write_b32 v123, v28 offset:576
	ds_write2_b32 v124, v25, v27 offset1:72
	ds_write_b32 v124, v30 offset:576
	v_pack_b32_f16 v25, v33, v34
	v_pack_b32_f16 v24, v24, v47
	;; [unrolled: 1-line block ×5, first 2 shown]
	v_fmamk_f16 v20, v17, 0xbaee, v18
	v_fmac_f16_e32 v18, 0x3aee, v17
	v_add_f16_e32 v17, v57, v58
	v_fmamk_f16 v46, v43, 0x3aee, v45
	v_pack_b32_f16 v21, v21, v29
	v_fmac_f16_e32 v45, 0xbaee, v43
	v_pack_b32_f16 v28, v31, v32
	v_pack_b32_f16 v29, v38, v51
	ds_write2_b32 v122, v25, v24 offset1:72
	ds_write_b32 v122, v23 offset:576
	ds_write2_b32 v121, v26, v27 offset1:72
	ds_write_b32 v121, v21 offset:576
	ds_write2_b32 v119, v28, v29 offset1:72
	v_pack_b32_f16 v21, v22, v50
	v_pack_b32_f16 v22, v49, v52
	;; [unrolled: 1-line block ×6, first 2 shown]
	v_add_nc_u32_e32 v27, 0x1400, v118
	v_pack_b32_f16 v28, v18, v45
	ds_write_b32 v119, v21 offset:576
	ds_write2_b32 v120, v22, v23 offset1:72
	ds_write_b32 v120, v24 offset:576
	ds_write2_b32 v27, v25, v26 offset0:16 offset1:88
	ds_write_b32 v118, v28 offset:5760
	s_waitcnt lgkmcnt(0)
	s_barrier
	buffer_gl0_inv
	ds_read2_b32 v[23:24], v89 offset1:63
	ds_read2_b32 v[21:22], v89 offset0:126 offset1:216
	ds_read2_b32 v[43:44], v82 offset0:176 offset1:239
	;; [unrolled: 1-line block ×9, first 2 shown]
	ds_read_b32 v47, v89 offset:5688
	s_and_saveexec_b32 s0, vcc_lo
	s_cbranch_execz .LBB0_7
; %bb.6:
	v_add_nc_u32_e32 v17, 0x280, v89
	v_add_nc_u32_e32 v18, 0x980, v89
	ds_read2_b32 v[71:72], v84 offset0:29 offset1:245
	ds_read_b32 v80, v89 offset:5940
	ds_read2_b32 v[19:20], v17 offset0:29 offset1:245
	ds_read2_b32 v[75:76], v18 offset0:13 offset1:229
	s_waitcnt lgkmcnt(3)
	v_lshrrev_b32_e32 v77, 16, v71
	v_lshrrev_b32_e32 v79, 16, v72
	s_waitcnt lgkmcnt(2)
	v_lshrrev_b32_e32 v81, 16, v80
	s_waitcnt lgkmcnt(1)
	v_lshrrev_b32_e32 v17, 16, v19
	v_lshrrev_b32_e32 v46, 16, v20
	s_waitcnt lgkmcnt(0)
	v_lshrrev_b32_e32 v45, 16, v75
	v_lshrrev_b32_e32 v78, 16, v76
	v_mov_b32_e32 v18, v75
.LBB0_7:
	s_or_b32 exec_lo, exec_lo, s0
	s_waitcnt lgkmcnt(9)
	v_lshrrev_b32_e32 v48, 16, v22
	s_waitcnt lgkmcnt(8)
	v_lshrrev_b32_e32 v49, 16, v43
	;; [unrolled: 2-line block ×5, first 2 shown]
	v_mul_f16_sdwa v62, v0, v48 dst_sel:DWORD dst_unused:UNUSED_PAD src0_sel:WORD_1 src1_sel:DWORD
	s_waitcnt lgkmcnt(4)
	v_lshrrev_b32_e32 v53, 16, v33
	v_mul_f16_sdwa v67, v1, v49 dst_sel:DWORD dst_unused:UNUSED_PAD src0_sel:WORD_1 src1_sel:DWORD
	v_mul_f16_sdwa v68, v1, v43 dst_sel:DWORD dst_unused:UNUSED_PAD src0_sel:WORD_1 src1_sel:DWORD
	;; [unrolled: 1-line block ×3, first 2 shown]
	v_fmac_f16_e32 v62, v0, v22
	v_mul_f16_sdwa v22, v0, v22 dst_sel:DWORD dst_unused:UNUSED_PAD src0_sel:WORD_1 src1_sel:DWORD
	s_waitcnt lgkmcnt(3)
	v_lshrrev_b32_e32 v54, 16, v37
	v_lshrrev_b32_e32 v55, 16, v44
	v_mul_f16_sdwa v83, v2, v26 dst_sel:DWORD dst_unused:UNUSED_PAD src0_sel:WORD_1 src1_sel:DWORD
	v_fmac_f16_e32 v67, v1, v43
	v_fma_f16 v0, v0, v48, -v22
	v_fma_f16 v1, v1, v49, -v68
	v_fmac_f16_e32 v75, v2, v26
	v_mul_f16_sdwa v22, v3, v51 dst_sel:DWORD dst_unused:UNUSED_PAD src0_sel:WORD_1 src1_sel:DWORD
	v_mul_f16_sdwa v26, v3, v39 dst_sel:DWORD dst_unused:UNUSED_PAD src0_sel:WORD_1 src1_sel:DWORD
	;; [unrolled: 1-line block ×5, first 2 shown]
	s_waitcnt lgkmcnt(2)
	v_lshrrev_b32_e32 v56, 16, v31
	v_lshrrev_b32_e32 v57, 16, v40
	s_waitcnt lgkmcnt(1)
	v_lshrrev_b32_e32 v58, 16, v29
	v_fmac_f16_e32 v22, v3, v39
	v_fma_f16 v3, v3, v51, -v26
	v_fmac_f16_e32 v43, v41, v28
	v_fma_f16 v26, v41, v52, -v48
	v_fmac_f16_e32 v49, v42, v33
	v_mul_f16_sdwa v28, v42, v33 dst_sel:DWORD dst_unused:UNUSED_PAD src0_sel:WORD_1 src1_sel:DWORD
	v_mul_f16_sdwa v33, v4, v54 dst_sel:DWORD dst_unused:UNUSED_PAD src0_sel:WORD_1 src1_sel:DWORD
	;; [unrolled: 1-line block ×5, first 2 shown]
	v_lshrrev_b32_e32 v59, 16, v34
	v_lshrrev_b32_e32 v60, 16, v38
	v_fma_f16 v28, v42, v53, -v28
	v_fmac_f16_e32 v33, v4, v37
	v_fma_f16 v4, v4, v54, -v39
	v_fmac_f16_e32 v41, v5, v44
	v_fma_f16 v5, v5, v55, -v48
	v_mul_f16_sdwa v37, v6, v56 dst_sel:DWORD dst_unused:UNUSED_PAD src0_sel:WORD_1 src1_sel:DWORD
	v_mul_f16_sdwa v39, v6, v31 dst_sel:DWORD dst_unused:UNUSED_PAD src0_sel:WORD_1 src1_sel:DWORD
	;; [unrolled: 1-line block ×5, first 2 shown]
	v_lshrrev_b32_e32 v61, 16, v25
	v_lshrrev_b32_e32 v63, 16, v32
	;; [unrolled: 1-line block ×3, first 2 shown]
	v_fmac_f16_e32 v37, v6, v31
	v_fma_f16 v6, v6, v56, -v39
	v_fmac_f16_e32 v42, v7, v40
	v_fma_f16 v7, v7, v57, -v44
	v_fmac_f16_e32 v48, v35, v29
	v_mul_f16_sdwa v29, v35, v29 dst_sel:DWORD dst_unused:UNUSED_PAD src0_sel:WORD_1 src1_sel:DWORD
	v_mul_f16_sdwa v31, v36, v59 dst_sel:DWORD dst_unused:UNUSED_PAD src0_sel:WORD_1 src1_sel:DWORD
	;; [unrolled: 1-line block ×5, first 2 shown]
	v_lshrrev_b32_e32 v65, 16, v30
	s_waitcnt lgkmcnt(0)
	v_lshrrev_b32_e32 v66, 16, v47
	v_fma_f16 v29, v35, v58, -v29
	v_fmac_f16_e32 v31, v36, v34
	v_fma_f16 v34, v36, v59, -v39
	v_fmac_f16_e32 v40, v12, v38
	v_fma_f16 v12, v12, v60, -v44
	v_mul_f16_sdwa v35, v13, v61 dst_sel:DWORD dst_unused:UNUSED_PAD src0_sel:WORD_1 src1_sel:DWORD
	v_mul_f16_sdwa v36, v13, v25 dst_sel:DWORD dst_unused:UNUSED_PAD src0_sel:WORD_1 src1_sel:DWORD
	;; [unrolled: 1-line block ×5, first 2 shown]
	v_fmac_f16_e32 v35, v13, v25
	v_fma_f16 v13, v13, v61, -v36
	v_fmac_f16_e32 v38, v14, v32
	v_fma_f16 v14, v14, v63, -v39
	v_fmac_f16_e32 v44, v15, v27
	v_mul_f16_sdwa v25, v15, v27 dst_sel:DWORD dst_unused:UNUSED_PAD src0_sel:WORD_1 src1_sel:DWORD
	v_mul_f16_sdwa v27, v73, v65 dst_sel:DWORD dst_unused:UNUSED_PAD src0_sel:WORD_1 src1_sel:DWORD
	;; [unrolled: 1-line block ×5, first 2 shown]
	v_fma_f16 v2, v2, v50, -v83
	v_fma_f16 v15, v15, v64, -v25
	v_fmac_f16_e32 v27, v73, v30
	v_fma_f16 v25, v73, v65, -v32
	v_fmac_f16_e32 v36, v74, v47
	v_fma_f16 v30, v74, v66, -v39
	v_add_f16_e32 v32, v62, v49
	v_add_f16_e32 v39, v0, v28
	v_sub_f16_e32 v47, v62, v49
	v_sub_f16_e32 v0, v0, v28
	v_add_f16_e32 v28, v67, v43
	v_add_f16_e32 v49, v1, v26
	v_sub_f16_e32 v43, v67, v43
	v_sub_f16_e32 v1, v1, v26
	;; [unrolled: 4-line block ×4, first 2 shown]
	v_sub_f16_e32 v32, v32, v26
	v_sub_f16_e32 v39, v39, v50
	;; [unrolled: 1-line block ×4, first 2 shown]
	v_add_f16_e32 v54, v22, v43
	v_add_f16_e32 v55, v2, v1
	v_sub_f16_e32 v56, v22, v43
	v_sub_f16_e32 v57, v2, v1
	;; [unrolled: 1-line block ×3, first 2 shown]
	v_add_f16_e32 v3, v26, v3
	v_add_f16_e32 v26, v50, v51
	v_sub_f16_e32 v1, v1, v0
	v_sub_f16_e32 v22, v47, v22
	;; [unrolled: 1-line block ×3, first 2 shown]
	v_add_f16_e32 v47, v54, v47
	v_add_f16_e32 v0, v55, v0
	v_add_f16_e32 v50, v23, v3
	v_add_f16_sdwa v23, v23, v26 dst_sel:DWORD dst_unused:UNUSED_PAD src0_sel:WORD_1 src1_sel:DWORD
	v_mul_f16_e32 v32, 0x3a52, v32
	v_mul_f16_e32 v39, 0x3a52, v39
	;; [unrolled: 1-line block ×8, first 2 shown]
	v_fmamk_f16 v3, v3, 0xbcab, v50
	v_fmamk_f16 v26, v26, 0xbcab, v23
	;; [unrolled: 1-line block ×4, first 2 shown]
	v_fma_f16 v51, v52, 0x39e0, -v51
	v_fma_f16 v54, v53, 0x39e0, -v54
	;; [unrolled: 1-line block ×4, first 2 shown]
	v_fmamk_f16 v52, v22, 0xb574, v55
	v_fmamk_f16 v53, v2, 0xb574, v56
	v_fma_f16 v22, v22, 0x3574, -v57
	v_fma_f16 v2, v2, 0x3574, -v58
	;; [unrolled: 1-line block ×4, first 2 shown]
	v_add_f16_e32 v28, v28, v3
	v_add_f16_e32 v49, v49, v26
	v_add_f16_e32 v51, v51, v3
	v_add_f16_e32 v54, v54, v26
	v_add_f16_e32 v3, v32, v3
	v_add_f16_e32 v26, v39, v26
	v_fmac_f16_e32 v52, 0xb70e, v47
	v_fmac_f16_e32 v53, 0xb70e, v0
	;; [unrolled: 1-line block ×6, first 2 shown]
	v_add_f16_e32 v0, v53, v28
	v_sub_f16_e32 v32, v49, v52
	v_add_f16_e32 v39, v2, v3
	v_sub_f16_e32 v47, v26, v22
	v_sub_f16_e32 v2, v3, v2
	v_add_f16_e32 v3, v22, v26
	v_sub_f16_e32 v22, v28, v53
	v_add_f16_e32 v26, v52, v49
	v_add_f16_e32 v28, v33, v31
	;; [unrolled: 1-line block ×3, first 2 shown]
	v_sub_f16_e32 v31, v33, v31
	v_sub_f16_e32 v4, v4, v34
	v_add_f16_e32 v33, v41, v48
	v_add_f16_e32 v34, v5, v29
	v_sub_f16_e32 v41, v41, v48
	v_sub_f16_e32 v5, v5, v29
	v_add_f16_e32 v29, v37, v42
	v_add_f16_e32 v48, v6, v7
	;; [unrolled: 4-line block ×3, first 2 shown]
	v_sub_f16_e32 v55, v51, v1
	v_add_f16_e32 v56, v43, v54
	v_add_f16_e32 v1, v1, v51
	v_sub_f16_e32 v43, v54, v43
	v_sub_f16_e32 v51, v33, v28
	;; [unrolled: 1-line block ×7, first 2 shown]
	v_add_f16_e32 v53, v37, v41
	v_add_f16_e32 v54, v6, v5
	v_sub_f16_e32 v57, v37, v41
	v_sub_f16_e32 v58, v6, v5
	;; [unrolled: 1-line block ×3, first 2 shown]
	v_add_f16_e32 v7, v29, v7
	v_add_f16_e32 v29, v48, v42
	v_sub_f16_e32 v5, v5, v4
	v_sub_f16_e32 v37, v31, v37
	;; [unrolled: 1-line block ×3, first 2 shown]
	v_add_f16_e32 v31, v53, v31
	v_add_f16_e32 v4, v54, v4
	v_add_f16_e32 v42, v24, v7
	v_add_f16_sdwa v24, v24, v29 dst_sel:DWORD dst_unused:UNUSED_PAD src0_sel:WORD_1 src1_sel:DWORD
	v_mul_f16_e32 v28, 0x3a52, v28
	v_mul_f16_e32 v48, 0x3a52, v49
	;; [unrolled: 1-line block ×8, first 2 shown]
	v_fmamk_f16 v7, v7, 0xbcab, v42
	v_fmamk_f16 v29, v29, 0xbcab, v24
	;; [unrolled: 1-line block ×4, first 2 shown]
	v_fma_f16 v49, v51, 0x39e0, -v49
	v_fma_f16 v53, v52, 0x39e0, -v53
	;; [unrolled: 1-line block ×4, first 2 shown]
	v_fmamk_f16 v51, v37, 0xb574, v54
	v_fmamk_f16 v52, v6, 0xb574, v57
	v_fma_f16 v37, v37, 0x3574, -v58
	v_fma_f16 v6, v6, 0x3574, -v59
	;; [unrolled: 1-line block ×4, first 2 shown]
	v_add_f16_e32 v33, v33, v7
	v_add_f16_e32 v34, v34, v29
	;; [unrolled: 1-line block ×5, first 2 shown]
	v_fmac_f16_e32 v51, 0xb70e, v31
	v_fmac_f16_e32 v52, 0xb70e, v4
	;; [unrolled: 1-line block ×4, first 2 shown]
	v_add_f16_e32 v53, v53, v29
	v_fmac_f16_e32 v41, 0xb70e, v31
	v_fmac_f16_e32 v5, 0xb70e, v4
	v_add_f16_e32 v4, v52, v33
	v_sub_f16_e32 v29, v34, v51
	v_add_f16_e32 v31, v6, v7
	v_sub_f16_e32 v48, v28, v37
	v_sub_f16_e32 v6, v7, v6
	v_add_f16_e32 v7, v37, v28
	v_sub_f16_e32 v28, v33, v52
	v_add_f16_e32 v33, v51, v34
	v_add_f16_e32 v34, v40, v36
	v_add_f16_e32 v37, v12, v30
	v_sub_f16_e32 v36, v40, v36
	v_sub_f16_e32 v12, v12, v30
	v_add_f16_e32 v30, v35, v27
	v_add_f16_e32 v40, v13, v25
	v_sub_f16_e32 v27, v35, v27
	v_sub_f16_e32 v13, v13, v25
	v_add_f16_e32 v25, v38, v44
	v_add_f16_e32 v35, v14, v15
	;; [unrolled: 4-line block ×3, first 2 shown]
	v_sub_f16_e32 v54, v49, v5
	v_add_f16_e32 v57, v41, v53
	v_add_f16_e32 v5, v5, v49
	v_sub_f16_e32 v41, v53, v41
	v_sub_f16_e32 v49, v30, v34
	;; [unrolled: 1-line block ×7, first 2 shown]
	v_add_f16_e32 v52, v38, v27
	v_add_f16_e32 v53, v14, v13
	v_sub_f16_e32 v58, v38, v27
	v_sub_f16_e32 v59, v14, v13
	;; [unrolled: 1-line block ×3, first 2 shown]
	v_add_f16_e32 v15, v25, v15
	v_add_f16_e32 v25, v35, v44
	v_sub_f16_e32 v13, v13, v12
	v_sub_f16_e32 v38, v36, v38
	;; [unrolled: 1-line block ×3, first 2 shown]
	v_add_f16_e32 v35, v52, v36
	v_add_f16_e32 v12, v53, v12
	;; [unrolled: 1-line block ×3, first 2 shown]
	v_add_f16_sdwa v21, v21, v25 dst_sel:DWORD dst_unused:UNUSED_PAD src0_sel:WORD_1 src1_sel:DWORD
	v_mul_f16_e32 v34, 0x3a52, v34
	v_mul_f16_e32 v37, 0x3a52, v37
	;; [unrolled: 1-line block ×8, first 2 shown]
	v_fmamk_f16 v15, v15, 0xbcab, v36
	v_fmamk_f16 v25, v25, 0xbcab, v21
	;; [unrolled: 1-line block ×4, first 2 shown]
	v_fma_f16 v44, v49, 0x39e0, -v44
	v_fma_f16 v52, v51, 0x39e0, -v52
	;; [unrolled: 1-line block ×4, first 2 shown]
	v_fmamk_f16 v49, v38, 0xb574, v53
	v_fmamk_f16 v51, v14, 0xb574, v58
	v_fma_f16 v38, v38, 0x3574, -v59
	v_fma_f16 v14, v14, 0x3574, -v60
	;; [unrolled: 1-line block ×3, first 2 shown]
	v_add_f16_e32 v30, v30, v15
	v_add_f16_e32 v40, v40, v25
	;; [unrolled: 1-line block ×6, first 2 shown]
	v_fmac_f16_e32 v14, 0xb70e, v12
	v_fmac_f16_e32 v38, 0xb70e, v35
	v_pack_b32_f16 v0, v0, v32
	v_pack_b32_f16 v32, v39, v47
	v_fmac_f16_e32 v49, 0xb70e, v35
	v_fmac_f16_e32 v27, 0xb70e, v35
	v_add_f16_e32 v35, v14, v15
	v_sub_f16_e32 v37, v25, v38
	v_sub_f16_e32 v14, v15, v14
	v_add_f16_e32 v15, v38, v25
	v_pack_b32_f16 v38, v55, v56
	ds_write_b32 v89, v0 offset:864
	ds_write_b32 v89, v32 offset:1728
	v_pack_b32_f16 v0, v2, v3
	v_fma_f16 v13, v13, 0xbb00, -v58
	v_pack_b32_f16 v1, v1, v43
	v_fmac_f16_e32 v51, 0xb70e, v12
	ds_write_b32 v89, v38 offset:2592
	ds_write_b32 v89, v1 offset:3456
	v_pack_b32_f16 v1, v22, v26
	ds_write_b32 v89, v0 offset:4320
	v_pack_b32_f16 v0, v31, v48
	v_fmac_f16_e32 v13, 0xb70e, v12
	v_pack_b32_f16 v23, v50, v23
	v_pack_b32_f16 v2, v42, v24
	;; [unrolled: 1-line block ×3, first 2 shown]
	v_add_f16_e32 v12, v51, v30
	v_sub_f16_e32 v34, v40, v49
	ds_write_b32 v89, v1 offset:5184
	ds_write2_b32 v89, v23, v2 offset1:63
	ds_write_b32 v89, v0 offset:1980
	ds_write_b32 v89, v3 offset:2844
	v_pack_b32_f16 v0, v5, v41
	v_sub_f16_e32 v53, v44, v13
	v_add_f16_e32 v58, v27, v52
	v_pack_b32_f16 v2, v6, v7
	v_add_f16_e32 v13, v13, v44
	v_sub_f16_e32 v27, v52, v27
	v_pack_b32_f16 v3, v28, v33
	v_pack_b32_f16 v1, v4, v29
	;; [unrolled: 1-line block ×3, first 2 shown]
	v_sub_f16_e32 v25, v30, v51
	v_add_f16_e32 v30, v49, v40
	v_pack_b32_f16 v5, v12, v34
	ds_write_b32 v89, v0 offset:3708
	ds_write_b32 v89, v2 offset:4572
	;; [unrolled: 1-line block ×4, first 2 shown]
	ds_write2_b32 v82, v1, v5 offset0:23 offset1:86
	v_pack_b32_f16 v0, v35, v37
	v_pack_b32_f16 v1, v53, v58
	;; [unrolled: 1-line block ×5, first 2 shown]
	ds_write_b32 v89, v0 offset:2232
	ds_write_b32 v89, v1 offset:3096
	;; [unrolled: 1-line block ×5, first 2 shown]
	s_and_saveexec_b32 s0, vcc_lo
	s_cbranch_execz .LBB0_9
; %bb.8:
	v_mul_f16_sdwa v3, v9, v45 dst_sel:DWORD dst_unused:UNUSED_PAD src0_sel:WORD_1 src1_sel:DWORD
	v_mul_f16_sdwa v0, v8, v46 dst_sel:DWORD dst_unused:UNUSED_PAD src0_sel:WORD_1 src1_sel:DWORD
	;; [unrolled: 1-line block ×5, first 2 shown]
	v_fmac_f16_e32 v3, v9, v18
	v_mul_f16_sdwa v18, v9, v18 dst_sel:DWORD dst_unused:UNUSED_PAD src0_sel:WORD_1 src1_sel:DWORD
	v_mul_f16_sdwa v1, v11, v77 dst_sel:DWORD dst_unused:UNUSED_PAD src0_sel:WORD_1 src1_sel:DWORD
	v_mul_f16_sdwa v2, v10, v78 dst_sel:DWORD dst_unused:UNUSED_PAD src0_sel:WORD_1 src1_sel:DWORD
	v_fmac_f16_e32 v0, v8, v20
	v_fma_f16 v12, v70, v81, -v12
	v_fma_f16 v8, v8, v46, -v15
	v_mul_f16_sdwa v15, v10, v76 dst_sel:DWORD dst_unused:UNUSED_PAD src0_sel:WORD_1 src1_sel:DWORD
	v_mul_f16_sdwa v22, v11, v71 dst_sel:DWORD dst_unused:UNUSED_PAD src0_sel:WORD_1 src1_sel:DWORD
	v_fma_f16 v21, v69, v79, -v21
	v_fma_f16 v9, v9, v45, -v18
	v_mul_f16_sdwa v4, v69, v79 dst_sel:DWORD dst_unused:UNUSED_PAD src0_sel:WORD_1 src1_sel:DWORD
	v_mul_f16_sdwa v5, v70, v81 dst_sel:DWORD dst_unused:UNUSED_PAD src0_sel:WORD_1 src1_sel:DWORD
	v_fmac_f16_e32 v1, v11, v71
	v_fmac_f16_e32 v2, v10, v76
	v_add_f16_e32 v18, v12, v8
	v_fma_f16 v10, v10, v78, -v15
	v_fma_f16 v11, v11, v77, -v22
	v_add_f16_e32 v15, v21, v9
	v_fmac_f16_e32 v4, v69, v72
	v_fmac_f16_e32 v5, v70, v80
	v_sub_f16_e32 v6, v1, v2
	v_add_f16_e32 v23, v10, v11
	v_add_f16_e32 v24, v15, v18
	v_sub_f16_e32 v7, v3, v4
	v_sub_f16_e32 v13, v0, v5
	v_add_f16_e32 v0, v5, v0
	v_add_f16_e32 v3, v4, v3
	;; [unrolled: 1-line block ×3, first 2 shown]
	v_sub_f16_e32 v25, v18, v23
	v_add_f16_e32 v1, v2, v1
	v_sub_f16_e32 v10, v11, v10
	v_sub_f16_e32 v9, v9, v21
	v_add_f16_e32 v2, v17, v24
	v_add_f16_e32 v17, v3, v0
	v_mul_f16_e32 v5, 0x3a52, v25
	v_sub_f16_e32 v25, v0, v1
	v_sub_f16_e32 v8, v8, v12
	v_sub_f16_e32 v14, v6, v7
	v_add_f16_e32 v17, v1, v17
	v_sub_f16_e32 v4, v23, v15
	v_mul_f16_e32 v11, 0x3a52, v25
	v_sub_f16_e32 v1, v1, v3
	v_sub_f16_e32 v12, v10, v9
	v_add_f16_e32 v19, v19, v17
	v_sub_f16_e32 v20, v13, v6
	v_add_f16_e32 v6, v6, v7
	v_sub_f16_e32 v25, v8, v10
	v_sub_f16_e32 v7, v7, v13
	v_add_f16_e32 v10, v10, v9
	v_sub_f16_e32 v0, v3, v0
	v_sub_f16_e32 v3, v9, v8
	v_mul_f16_e32 v14, 0x3846, v14
	v_mul_f16_e32 v23, 0x2b26, v4
	v_fmamk_f16 v21, v1, 0x2b26, v11
	v_fmamk_f16 v17, v17, 0xbcab, v19
	v_mul_f16_e32 v12, 0x3846, v12
	v_sub_f16_e32 v15, v15, v18
	v_mul_f16_e32 v1, 0x2b26, v1
	v_mul_f16_e32 v27, 0xbb00, v7
	v_add_f16_e32 v8, v10, v8
	v_fma_f16 v10, v0, 0xb9e0, -v11
	v_mul_f16_e32 v11, 0xbb00, v3
	v_fmamk_f16 v22, v20, 0xb574, v14
	v_add_f16_e32 v6, v6, v13
	v_fmamk_f16 v4, v4, 0x2b26, v5
	v_fmamk_f16 v24, v24, 0xbcab, v2
	v_add_f16_e32 v13, v21, v17
	v_fmamk_f16 v21, v25, 0xb574, v12
	v_fma_f16 v5, v15, 0xb9e0, -v5
	v_fma_f16 v15, v15, 0x39e0, -v23
	;; [unrolled: 1-line block ×7, first 2 shown]
	v_fmac_f16_e32 v22, 0xb70e, v6
	v_add_f16_e32 v4, v4, v24
	v_fmac_f16_e32 v21, 0xb70e, v8
	v_add_f16_e32 v1, v15, v24
	v_fmac_f16_e32 v7, 0xb70e, v6
	v_fmac_f16_e32 v9, 0xb70e, v6
	v_add_f16_e32 v5, v5, v24
	v_add_f16_e32 v10, v10, v17
	v_fmac_f16_e32 v11, 0xb70e, v8
	v_fmac_f16_e32 v3, 0xb70e, v8
	v_add_f16_e32 v0, v0, v17
	v_add_f16_e32 v26, v22, v4
	v_sub_f16_e32 v14, v1, v7
	v_add_f16_e32 v1, v7, v1
	v_sub_f16_e32 v4, v4, v22
	v_add_f16_e32 v7, v21, v13
	v_add_f16_e32 v8, v9, v5
	;; [unrolled: 1-line block ×3, first 2 shown]
	v_sub_f16_e32 v5, v5, v9
	v_add_f16_e32 v9, v11, v10
	v_sub_f16_e32 v0, v0, v3
	v_sub_f16_e32 v12, v10, v11
	;; [unrolled: 1-line block ×3, first 2 shown]
	v_pack_b32_f16 v2, v19, v2
	v_pack_b32_f16 v3, v7, v4
	v_add_nc_u32_e32 v4, 0x280, v89
	v_pack_b32_f16 v5, v9, v5
	v_pack_b32_f16 v0, v0, v1
	v_add_nc_u32_e32 v1, 0x980, v89
	;; [unrolled: 3-line block ×3, first 2 shown]
	v_pack_b32_f16 v6, v6, v26
	ds_write2_b32 v4, v2, v3 offset0:29 offset1:245
	ds_write2_b32 v1, v5, v0 offset0:13 offset1:229
	;; [unrolled: 1-line block ×3, first 2 shown]
	ds_write_b32 v89, v6 offset:5940
.LBB0_9:
	s_or_b32 exec_lo, exec_lo, s0
	s_waitcnt lgkmcnt(0)
	s_barrier
	buffer_gl0_inv
	ds_read2_b32 v[0:1], v89 offset1:63
	v_add_nc_u32_e32 v2, 0xa00, v89
	s_mov_b32 s4, 0x6b015ac0
	s_mov_b32 s5, 0x3f45ac05
	s_mul_i32 s7, s8, 0xfffff52c
	ds_read2_b32 v[2:3], v2 offset0:116 offset1:179
	s_waitcnt lgkmcnt(1)
	v_lshrrev_b32_e32 v4, 16, v0
	v_mul_f16_sdwa v5, v114, v0 dst_sel:DWORD dst_unused:UNUSED_PAD src0_sel:WORD_1 src1_sel:DWORD
	v_lshrrev_b32_e32 v21, 16, v1
	v_mul_f16_sdwa v6, v114, v4 dst_sel:DWORD dst_unused:UNUSED_PAD src0_sel:WORD_1 src1_sel:DWORD
	v_fma_f16 v4, v114, v4, -v5
	s_waitcnt lgkmcnt(0)
	v_lshrrev_b32_e32 v10, 16, v2
	v_mul_f16_sdwa v5, v113, v2 dst_sel:DWORD dst_unused:UNUSED_PAD src0_sel:WORD_1 src1_sel:DWORD
	v_mul_f16_sdwa v14, v112, v21 dst_sel:DWORD dst_unused:UNUSED_PAD src0_sel:WORD_1 src1_sel:DWORD
	v_fmac_f16_e32 v6, v114, v0
	v_cvt_f32_f16_e32 v0, v4
	v_mul_f16_sdwa v15, v113, v10 dst_sel:DWORD dst_unused:UNUSED_PAD src0_sel:WORD_1 src1_sel:DWORD
	v_fma_f16 v11, v113, v10, -v5
	v_fmac_f16_e32 v14, v112, v1
	v_cvt_f32_f16_e32 v8, v6
	v_cvt_f64_f32_e32 v[4:5], v0
	v_mad_u64_u32 v[6:7], null, s10, v16, 0
	v_cvt_f32_f16_e32 v0, v11
	v_cvt_f64_f32_e32 v[8:9], v8
	v_mad_u64_u32 v[10:11], null, s8, v111, 0
	v_fmac_f16_e32 v15, v113, v2
	v_cvt_f64_f32_e32 v[12:13], v0
	v_mov_b32_e32 v0, v7
	v_cvt_f32_f16_e32 v7, v14
	v_cvt_f32_f16_e32 v17, v15
	v_mov_b32_e32 v2, v11
	v_mad_u64_u32 v[14:15], null, s11, v16, v[0:1]
	v_cvt_f64_f32_e32 v[15:16], v7
	v_cvt_f64_f32_e32 v[17:18], v17
	v_mad_u64_u32 v[19:20], null, s9, v111, v[2:3]
	v_mul_f16_sdwa v2, v112, v1 dst_sel:DWORD dst_unused:UNUSED_PAD src0_sel:WORD_1 src1_sel:DWORD
	v_mul_f64 v[4:5], v[4:5], s[4:5]
	v_mov_b32_e32 v7, v14
	v_fma_f16 v2, v112, v21, -v2
	v_mul_f64 v[0:1], v[8:9], s[4:5]
	v_mov_b32_e32 v11, v19
	v_lshlrev_b64 v[6:7], 2, v[6:7]
	v_mul_f64 v[8:9], v[12:13], s[4:5]
	v_cvt_f32_f16_e32 v2, v2
	v_add_co_u32 v19, vcc_lo, s2, v6
	v_add_co_ci_u32_e32 v20, vcc_lo, s3, v7, vcc_lo
	v_cvt_f64_f32_e32 v[6:7], v2
	v_mul_f64 v[12:13], v[15:16], s[4:5]
	v_mul_f64 v[14:15], v[17:18], s[4:5]
	s_mul_i32 s3, s8, 0xbd0
	v_and_or_b32 v2, 0x1ff, v5, v4
	v_lshrrev_b32_e32 v4, 8, v5
	v_bfe_u32 v16, v5, 20, 11
	v_lshrrev_b32_e32 v5, 16, v5
	v_and_or_b32 v0, 0x1ff, v1, v0
	v_cmp_ne_u32_e32 vcc_lo, 0, v2
	v_lshrrev_b32_e32 v17, 8, v1
	v_bfe_u32 v18, v1, 20, 11
	v_and_or_b32 v8, 0x1ff, v9, v8
	v_bfe_u32 v23, v9, 20, 11
	v_cndmask_b32_e64 v2, 0, 1, vcc_lo
	v_cmp_ne_u32_e32 vcc_lo, 0, v0
	v_sub_nc_u32_e32 v24, 0x3f1, v18
	v_sub_nc_u32_e32 v21, 0x3f1, v16
	v_add_nc_u32_e32 v16, 0xfffffc10, v16
	v_and_or_b32 v2, 0xffe, v4, v2
	v_cndmask_b32_e64 v0, 0, 1, vcc_lo
	v_cmp_ne_u32_e32 vcc_lo, 0, v8
	v_lshrrev_b32_e32 v22, 8, v9
	v_and_or_b32 v14, 0x1ff, v15, v14
	v_sub_nc_u32_e32 v26, 0x3f1, v23
	v_and_or_b32 v0, 0xffe, v17, v0
	v_cndmask_b32_e64 v8, 0, 1, vcc_lo
	v_med3_i32 v17, v24, 0, 13
	v_cmp_ne_u32_e32 vcc_lo, 0, v2
	v_med3_i32 v4, v21, 0, 13
	v_or_b32_e32 v28, 0x1000, v0
	v_or_b32_e32 v24, 0x1000, v2
	v_lshl_or_b32 v27, v16, 12, v2
	v_cndmask_b32_e64 v2, 0, 1, vcc_lo
	v_cmp_ne_u32_e32 vcc_lo, 0, v14
	v_and_or_b32 v8, 0xffe, v22, v8
	v_med3_i32 v22, v26, 0, 13
	v_lshrrev_b32_e32 v26, v17, v28
	v_add_nc_u32_e32 v18, 0xfffffc10, v18
	v_cndmask_b32_e64 v14, 0, 1, vcc_lo
	v_lshrrev_b32_e32 v31, v4, v24
	v_cmp_ne_u32_e32 vcc_lo, 0, v0
	v_lshlrev_b32_e32 v17, v17, v26
	v_lshrrev_b32_e32 v21, 8, v15
	v_bfe_u32 v25, v15, 20, 11
	v_lshl_or_b32 v30, v18, 12, v0
	v_cndmask_b32_e64 v0, 0, 1, vcc_lo
	v_lshlrev_b32_e32 v4, v4, v31
	v_cmp_ne_u32_e32 vcc_lo, v17, v28
	v_sub_nc_u32_e32 v29, 0x3f1, v25
	v_and_or_b32 v14, 0xffe, v21, v14
	v_add_nc_u32_e32 v25, 0xfffffc10, v25
	v_or_b32_e32 v28, 0x1000, v8
	v_cndmask_b32_e64 v17, 0, 1, vcc_lo
	v_cmp_ne_u32_e32 vcc_lo, v4, v24
	v_med3_i32 v21, v29, 0, 13
	v_or_b32_e32 v24, 0x1000, v14
	v_lshl_or_b32 v0, v0, 9, 0x7c00
	v_or_b32_e32 v17, v26, v17
	v_cndmask_b32_e64 v4, 0, 1, vcc_lo
	v_cmp_gt_i32_e32 vcc_lo, 1, v18
	v_lshrrev_b32_e32 v26, v21, v24
	v_lshl_or_b32 v2, v2, 9, 0x7c00
	v_lshrrev_b32_e32 v1, 16, v1
	v_or_b32_e32 v4, v31, v4
	v_cndmask_b32_e32 v17, v30, v17, vcc_lo
	v_cmp_gt_i32_e32 vcc_lo, 1, v16
	v_lshlrev_b32_e32 v21, v21, v26
	v_lshrrev_b32_e32 v30, v22, v28
	v_add_nc_u32_e32 v23, 0xfffffc10, v23
	v_and_b32_e32 v29, 7, v17
	v_cndmask_b32_e32 v4, v27, v4, vcc_lo
	v_cmp_ne_u32_e32 vcc_lo, v21, v24
	v_lshrrev_b32_e32 v17, 2, v17
	v_lshl_or_b32 v27, v25, 12, v14
	v_cmp_eq_u32_e64 s0, 3, v29
	v_and_b32_e32 v31, 7, v4
	v_cndmask_b32_e64 v21, 0, 1, vcc_lo
	v_cmp_lt_i32_e32 vcc_lo, 5, v29
	v_lshrrev_b32_e32 v4, 2, v4
	v_lshrrev_b32_e32 v9, 16, v9
	v_cmp_lt_i32_e64 s1, 5, v31
	v_cmp_eq_u32_e64 s2, 3, v31
	s_or_b32 vcc_lo, s0, vcc_lo
	v_or_b32_e32 v21, v26, v21
	v_add_co_ci_u32_e32 v17, vcc_lo, 0, v17, vcc_lo
	s_or_b32 vcc_lo, s2, s1
	s_mul_i32 s1, s9, 0xbd0
	v_add_co_ci_u32_e32 v4, vcc_lo, 0, v4, vcc_lo
	v_cmp_gt_i32_e32 vcc_lo, 31, v18
	s_mul_hi_u32 s2, s8, 0xbd0
	s_add_i32 s2, s2, s1
	v_cndmask_b32_e32 v17, 0x7c00, v17, vcc_lo
	v_cmp_gt_i32_e32 vcc_lo, 31, v16
	v_cndmask_b32_e32 v4, 0x7c00, v4, vcc_lo
	v_cmp_eq_u32_e32 vcc_lo, 0x40f, v18
	v_lshlrev_b32_e32 v18, v22, v30
	v_cndmask_b32_e32 v0, v17, v0, vcc_lo
	v_cmp_gt_i32_e32 vcc_lo, 1, v25
	v_and_or_b32 v0, 0x8000, v1, v0
	v_cndmask_b32_e32 v17, v27, v21, vcc_lo
	v_cmp_eq_u32_e32 vcc_lo, 0x40f, v16
	v_lshrrev_b32_e32 v16, 16, v3
	v_and_b32_e32 v0, 0xffff, v0
	v_and_b32_e32 v1, 7, v17
	v_cndmask_b32_e32 v2, v4, v2, vcc_lo
	v_cmp_ne_u32_e32 vcc_lo, v18, v28
	v_cmp_eq_u32_e64 s0, 3, v1
	v_and_or_b32 v2, 0x8000, v5, v2
	v_cndmask_b32_e64 v4, 0, 1, vcc_lo
	v_cmp_lt_i32_e32 vcc_lo, 5, v1
	v_lshl_or_b32 v2, v2, 16, v0
	v_or_b32_e32 v1, v30, v4
	v_lshrrev_b32_e32 v4, 2, v17
	s_or_b32 vcc_lo, s0, vcc_lo
	v_lshl_or_b32 v0, v23, 12, v8
	v_add_co_ci_u32_e32 v4, vcc_lo, 0, v4, vcc_lo
	v_cmp_ne_u32_e32 vcc_lo, 0, v14
	v_cndmask_b32_e64 v5, 0, 1, vcc_lo
	v_cmp_gt_i32_e32 vcc_lo, 1, v23
	v_lshl_or_b32 v5, v5, 9, 0x7c00
	v_cndmask_b32_e32 v14, v0, v1, vcc_lo
	v_lshlrev_b64 v[0:1], 2, v[10:11]
	v_cmp_gt_i32_e32 vcc_lo, 31, v25
	v_and_or_b32 v11, 0x1ff, v13, v12
	v_and_b32_e32 v10, 7, v14
	v_lshrrev_b32_e32 v14, 2, v14
	v_cndmask_b32_e32 v4, 0x7c00, v4, vcc_lo
	v_add_co_u32 v0, vcc_lo, v19, v0
	v_add_co_ci_u32_e32 v1, vcc_lo, v20, v1, vcc_lo
	v_cmp_eq_u32_e32 vcc_lo, 0x40f, v25
	v_cmp_ne_u32_e64 s0, 0, v11
	v_bfe_u32 v11, v13, 20, 11
	global_store_dword v[0:1], v2, off
	v_cndmask_b32_e32 v12, v4, v5, vcc_lo
	v_mul_f64 v[4:5], v[6:7], s[4:5]
	v_cmp_lt_i32_e32 vcc_lo, 5, v10
	v_cndmask_b32_e64 v6, 0, 1, s0
	v_cmp_eq_u32_e64 s0, 3, v10
	v_lshrrev_b32_e32 v7, 8, v13
	v_lshrrev_b32_e32 v10, 16, v15
	;; [unrolled: 1-line block ×3, first 2 shown]
	s_or_b32 vcc_lo, s0, vcc_lo
	v_and_or_b32 v15, 0xffe, v7, v6
	v_add_co_ci_u32_e32 v7, vcc_lo, 0, v14, vcc_lo
	v_cmp_ne_u32_e32 vcc_lo, 0, v8
	v_sub_nc_u32_e32 v6, 0x3f1, v11
	v_or_b32_e32 v14, 0x1000, v15
	v_add_nc_u32_e32 v11, 0xfffffc10, v11
	v_and_or_b32 v10, 0x8000, v10, v12
	v_cndmask_b32_e64 v8, 0, 1, vcc_lo
	v_cmp_gt_i32_e32 vcc_lo, 31, v23
	v_med3_i32 v6, v6, 0, 13
	v_and_b32_e32 v10, 0xffff, v10
	v_lshl_or_b32 v8, v8, 9, 0x7c00
	v_cndmask_b32_e32 v7, 0x7c00, v7, vcc_lo
	v_and_or_b32 v4, 0x1ff, v5, v4
	v_cmp_eq_u32_e32 vcc_lo, 0x40f, v23
	v_lshrrev_b32_e32 v17, v6, v14
	v_lshrrev_b32_e32 v18, 8, v5
	v_bfe_u32 v19, v5, 20, 11
	v_lshrrev_b32_e32 v5, 16, v5
	v_cndmask_b32_e32 v8, v7, v8, vcc_lo
	v_cmp_ne_u32_e32 vcc_lo, 0, v4
	v_lshlrev_b32_e32 v6, v6, v17
	v_mul_f16_sdwa v7, v110, v16 dst_sel:DWORD dst_unused:UNUSED_PAD src0_sel:WORD_1 src1_sel:DWORD
	v_and_or_b32 v8, 0x8000, v9, v8
	v_cndmask_b32_e64 v4, 0, 1, vcc_lo
	v_cmp_ne_u32_e32 vcc_lo, v6, v14
	v_sub_nc_u32_e32 v14, 0x3f1, v19
	v_fmac_f16_e32 v7, v110, v3
	v_mul_f16_sdwa v3, v110, v3 dst_sel:DWORD dst_unused:UNUSED_PAD src0_sel:WORD_1 src1_sel:DWORD
	v_and_or_b32 v4, 0xffe, v18, v4
	v_cndmask_b32_e64 v6, 0, 1, vcc_lo
	v_med3_i32 v14, v14, 0, 13
	v_cvt_f32_f16_e32 v7, v7
	v_lshl_or_b32 v18, v11, 12, v15
	v_or_b32_e32 v20, 0x1000, v4
	v_or_b32_e32 v17, v17, v6
	v_cmp_gt_i32_e32 vcc_lo, 1, v11
	v_cvt_f64_f32_e32 v[6:7], v7
	v_fma_f16 v3, v110, v16, -v3
	v_lshrrev_b32_e32 v12, v14, v20
	v_cndmask_b32_e32 v9, v18, v17, vcc_lo
	v_lshl_or_b32 v17, v8, 16, v10
	v_add_nc_u32_e32 v10, 0xfffffc10, v19
	v_lshlrev_b32_e32 v14, v14, v12
	v_and_b32_e32 v2, 7, v9
	v_cmp_ne_u32_e64 s0, v14, v20
	v_cmp_lt_i32_e32 vcc_lo, 5, v2
	v_cndmask_b32_e64 v8, 0, 1, s0
	v_cmp_eq_u32_e64 s0, 3, v2
	v_lshrrev_b32_e32 v2, 2, v9
	v_lshl_or_b32 v9, v10, 12, v4
	v_mul_f64 v[6:7], v[6:7], s[4:5]
	s_or_b32 vcc_lo, s0, vcc_lo
	v_or_b32_e32 v8, v12, v8
	v_add_co_ci_u32_e32 v2, vcc_lo, 0, v2, vcc_lo
	v_cmp_ne_u32_e32 vcc_lo, 0, v15
	v_cndmask_b32_e64 v12, 0, 1, vcc_lo
	v_cmp_gt_i32_e32 vcc_lo, 1, v10
	v_cndmask_b32_e32 v8, v9, v8, vcc_lo
	v_cmp_gt_i32_e32 vcc_lo, 31, v11
	v_lshl_or_b32 v9, v12, 9, 0x7c00
	v_and_b32_e32 v12, 7, v8
	v_cndmask_b32_e32 v2, 0x7c00, v2, vcc_lo
	v_cmp_eq_u32_e32 vcc_lo, 0x40f, v11
	v_and_or_b32 v6, 0x1ff, v7, v6
	v_lshrrev_b32_e32 v14, 8, v7
	v_cmp_eq_u32_e64 s0, 3, v12
	v_bfe_u32 v15, v7, 20, 11
	v_cndmask_b32_e32 v11, v2, v9, vcc_lo
	v_cvt_f32_f16_e32 v2, v3
	v_cmp_lt_i32_e32 vcc_lo, 5, v12
	v_lshrrev_b32_e32 v12, 2, v8
	v_cmp_ne_u32_e64 s1, 0, v6
	ds_read2_b32 v[8:9], v89 offset0:126 offset1:189
	v_cvt_f64_f32_e32 v[2:3], v2
	s_or_b32 vcc_lo, s0, vcc_lo
	v_and_or_b32 v11, 0x8000, v13, v11
	v_add_co_ci_u32_e32 v12, vcc_lo, 0, v12, vcc_lo
	v_cndmask_b32_e64 v6, 0, 1, s1
	v_cmp_ne_u32_e32 vcc_lo, 0, v4
	s_mul_hi_u32 s0, s8, 0xfffff52c
	s_mul_i32 s1, s9, 0xfffff52c
	s_sub_i32 s6, s0, s8
	v_and_or_b32 v6, 0xffe, v14, v6
	v_cndmask_b32_e64 v4, 0, 1, vcc_lo
	v_sub_nc_u32_e32 v14, 0x3f1, v15
	v_cmp_gt_i32_e32 vcc_lo, 31, v10
	v_add_nc_u32_e32 v15, 0xfffffc10, v15
	v_or_b32_e32 v16, 0x1000, v6
	v_lshl_or_b32 v4, v4, 9, 0x7c00
	v_med3_i32 v14, v14, 0, 13
	v_cndmask_b32_e32 v12, 0x7c00, v12, vcc_lo
	v_cmp_eq_u32_e32 vcc_lo, 0x40f, v10
	s_add_i32 s6, s6, s1
	v_lshrrev_b32_e32 v20, 16, v7
	v_mul_f64 v[2:3], v[2:3], s[4:5]
	v_lshrrev_b32_e32 v10, v14, v16
	v_cndmask_b32_e32 v4, v12, v4, vcc_lo
	s_waitcnt lgkmcnt(0)
	v_lshrrev_b32_e32 v12, 16, v8
	v_add_co_u32 v0, vcc_lo, v0, s3
	v_add_co_ci_u32_e32 v1, vcc_lo, s2, v1, vcc_lo
	v_and_or_b32 v4, 0x8000, v5, v4
	v_and_b32_e32 v5, 0xffff, v11
	v_lshlrev_b32_e32 v11, v14, v10
	v_mul_f16_sdwa v13, v109, v12 dst_sel:DWORD dst_unused:UNUSED_PAD src0_sel:WORD_1 src1_sel:DWORD
	v_lshl_or_b32 v14, v4, 16, v5
	v_cmp_ne_u32_e32 vcc_lo, v11, v16
	v_fmac_f16_e32 v13, v109, v8
	v_lshl_or_b32 v11, v15, 12, v6
	v_cndmask_b32_e64 v4, 0, 1, vcc_lo
	v_cvt_f32_f16_e32 v5, v13
	v_and_or_b32 v2, 0x1ff, v3, v2
	v_cmp_gt_i32_e32 vcc_lo, 1, v15
	v_lshrrev_b32_e32 v16, 8, v3
	v_or_b32_e32 v10, v10, v4
	v_cvt_f64_f32_e32 v[4:5], v5
	v_bfe_u32 v18, v3, 20, 11
	v_lshrrev_b32_e32 v3, 16, v3
	v_cndmask_b32_e32 v13, v11, v10, vcc_lo
	v_cmp_ne_u32_e32 vcc_lo, 0, v2
	v_and_b32_e32 v19, 7, v13
	v_cndmask_b32_e64 v2, 0, 1, vcc_lo
	v_add_co_u32 v10, vcc_lo, v0, s7
	v_add_co_ci_u32_e32 v11, vcc_lo, s6, v1, vcc_lo
	v_and_or_b32 v2, 0xffe, v16, v2
	v_sub_nc_u32_e32 v16, 0x3f1, v18
	global_store_dword v[0:1], v17, off
	global_store_dword v[10:11], v14, off
	v_cmp_lt_i32_e32 vcc_lo, 5, v19
	v_cmp_eq_u32_e64 s0, 3, v19
	v_or_b32_e32 v14, 0x1000, v2
	v_med3_i32 v16, v16, 0, 13
	v_mul_f64 v[0:1], v[4:5], s[4:5]
	v_lshrrev_b32_e32 v4, 2, v13
	s_or_b32 vcc_lo, s0, vcc_lo
	v_mul_f16_sdwa v5, v109, v8 dst_sel:DWORD dst_unused:UNUSED_PAD src0_sel:WORD_1 src1_sel:DWORD
	v_lshrrev_b32_e32 v13, v16, v14
	v_add_nc_u32_e32 v8, 0xc00, v89
	v_add_co_ci_u32_e32 v17, vcc_lo, 0, v4, vcc_lo
	v_cmp_gt_i32_e32 vcc_lo, 31, v15
	v_lshlrev_b32_e32 v16, v16, v13
	v_fma_f16 v12, v109, v12, -v5
	ds_read2_b32 v[4:5], v8 offset0:114 offset1:177
	v_add_co_u32 v10, s1, v10, s3
	v_cndmask_b32_e32 v8, 0x7c00, v17, vcc_lo
	v_cmp_ne_u32_e32 vcc_lo, v16, v14
	v_add_nc_u32_e32 v16, 0xfffffc10, v18
	v_cvt_f32_f16_e32 v12, v12
	v_add_co_ci_u32_e64 v11, s1, s2, v11, s1
	v_cndmask_b32_e64 v14, 0, 1, vcc_lo
	v_cmp_ne_u32_e32 vcc_lo, 0, v6
	v_lshl_or_b32 v17, v16, 12, v2
	v_and_or_b32 v0, 0x1ff, v1, v0
	v_bfe_u32 v18, v1, 20, 11
	v_or_b32_e32 v14, v13, v14
	v_cndmask_b32_e64 v6, 0, 1, vcc_lo
	v_cmp_gt_i32_e32 vcc_lo, 1, v16
	v_cvt_f64_f32_e32 v[12:13], v12
	v_lshl_or_b32 v6, v6, 9, 0x7c00
	v_cndmask_b32_e32 v14, v17, v14, vcc_lo
	v_cmp_ne_u32_e32 vcc_lo, 0, v0
	v_lshrrev_b32_e32 v17, 8, v1
	s_waitcnt lgkmcnt(0)
	v_lshrrev_b32_e32 v19, 16, v4
	v_lshrrev_b32_e32 v1, 16, v1
	v_cndmask_b32_e64 v0, 0, 1, vcc_lo
	v_cmp_eq_u32_e32 vcc_lo, 0x40f, v15
	v_sub_nc_u32_e32 v15, 0x3f1, v18
	v_and_or_b32 v0, 0xffe, v17, v0
	v_cndmask_b32_e32 v8, v8, v6, vcc_lo
	v_and_b32_e32 v6, 7, v14
	v_lshrrev_b32_e32 v14, 2, v14
	v_med3_i32 v15, v15, 0, 13
	v_or_b32_e32 v21, 0x1000, v0
	v_mul_f16_sdwa v17, v108, v19 dst_sel:DWORD dst_unused:UNUSED_PAD src0_sel:WORD_1 src1_sel:DWORD
	v_cmp_lt_i32_e32 vcc_lo, 5, v6
	v_cmp_eq_u32_e64 s0, 3, v6
	v_mul_f64 v[6:7], v[12:13], s[4:5]
	v_lshrrev_b32_e32 v22, v15, v21
	v_fmac_f16_e32 v17, v108, v4
	v_and_or_b32 v8, 0x8000, v20, v8
	s_or_b32 vcc_lo, s0, vcc_lo
	v_mul_f16_sdwa v4, v108, v4 dst_sel:DWORD dst_unused:UNUSED_PAD src0_sel:WORD_1 src1_sel:DWORD
	v_add_co_ci_u32_e32 v14, vcc_lo, 0, v14, vcc_lo
	v_cmp_ne_u32_e32 vcc_lo, 0, v2
	v_lshlrev_b32_e32 v15, v15, v22
	v_cvt_f32_f16_e32 v12, v17
	v_add_nc_u32_e32 v17, 0xfffffc10, v18
	v_and_b32_e32 v8, 0xffff, v8
	v_cndmask_b32_e64 v2, 0, 1, vcc_lo
	v_cmp_gt_i32_e32 vcc_lo, 31, v16
	v_cvt_f64_f32_e32 v[12:13], v12
	v_fma_f16 v4, v108, v19, -v4
	v_lshl_or_b32 v2, v2, 9, 0x7c00
	v_cndmask_b32_e32 v14, 0x7c00, v14, vcc_lo
	v_cmp_ne_u32_e32 vcc_lo, v15, v21
	v_cvt_f32_f16_e32 v4, v4
	v_and_or_b32 v6, 0x1ff, v7, v6
	v_bfe_u32 v18, v7, 20, 11
	v_cndmask_b32_e64 v15, 0, 1, vcc_lo
	v_cmp_eq_u32_e32 vcc_lo, 0x40f, v16
	v_cndmask_b32_e32 v2, v14, v2, vcc_lo
	v_or_b32_e32 v14, v22, v15
	v_lshl_or_b32 v15, v17, 12, v0
	v_cmp_gt_i32_e32 vcc_lo, 1, v17
	v_and_or_b32 v16, 0x8000, v3, v2
	v_mul_f64 v[2:3], v[12:13], s[4:5]
	v_sub_nc_u32_e32 v13, 0x3f1, v18
	v_cndmask_b32_e32 v14, v15, v14, vcc_lo
	v_cmp_ne_u32_e32 vcc_lo, 0, v6
	v_lshrrev_b32_e32 v15, 8, v7
	v_lshl_or_b32 v8, v16, 16, v8
	v_lshrrev_b32_e32 v7, 16, v7
	v_and_b32_e32 v12, 7, v14
	v_cndmask_b32_e64 v6, 0, 1, vcc_lo
	global_store_dword v[10:11], v8, off
	v_lshrrev_b32_e32 v8, 16, v9
	v_cmp_lt_i32_e32 vcc_lo, 5, v12
	v_and_or_b32 v6, 0xffe, v15, v6
	v_cmp_eq_u32_e64 s0, 3, v12
	v_med3_i32 v12, v13, 0, 13
	v_lshrrev_b32_e32 v13, 2, v14
	v_or_b32_e32 v15, 0x1000, v6
	s_or_b32 vcc_lo, s0, vcc_lo
	v_add_co_ci_u32_e32 v16, vcc_lo, 0, v13, vcc_lo
	v_lshrrev_b32_e32 v14, v12, v15
	v_cmp_gt_i32_e32 vcc_lo, 31, v17
	v_and_or_b32 v2, 0x1ff, v3, v2
	v_lshlrev_b32_e32 v19, v12, v14
	v_cvt_f64_f32_e32 v[12:13], v4
	v_cndmask_b32_e32 v4, 0x7c00, v16, vcc_lo
	v_add_nc_u32_e32 v16, 0xfffffc10, v18
	v_lshrrev_b32_e32 v18, 8, v3
	v_cmp_ne_u32_e32 vcc_lo, v19, v15
	v_bfe_u32 v19, v3, 20, 11
	v_lshrrev_b32_e32 v3, 16, v3
	v_cndmask_b32_e64 v15, 0, 1, vcc_lo
	v_cmp_ne_u32_e32 vcc_lo, 0, v2
	v_or_b32_e32 v14, v14, v15
	v_cndmask_b32_e64 v2, 0, 1, vcc_lo
	v_cmp_ne_u32_e32 vcc_lo, 0, v0
	v_lshl_or_b32 v15, v16, 12, v6
	v_and_or_b32 v2, 0xffe, v18, v2
	v_cndmask_b32_e64 v0, 0, 1, vcc_lo
	v_sub_nc_u32_e32 v18, 0x3f1, v19
	v_cmp_gt_i32_e32 vcc_lo, 1, v16
	v_mul_f64 v[12:13], v[12:13], s[4:5]
	v_lshl_or_b32 v0, v0, 9, 0x7c00
	v_med3_i32 v18, v18, 0, 13
	v_cndmask_b32_e32 v14, v15, v14, vcc_lo
	v_or_b32_e32 v15, 0x1000, v2
	v_cmp_eq_u32_e32 vcc_lo, 0x40f, v17
	v_and_b32_e32 v17, 7, v14
	v_lshrrev_b32_e32 v14, 2, v14
	v_cndmask_b32_e32 v0, v4, v0, vcc_lo
	v_lshrrev_b32_e32 v4, v18, v15
	v_cmp_lt_i32_e32 vcc_lo, 5, v17
	v_cmp_eq_u32_e64 s0, 3, v17
	v_and_or_b32 v20, 0x8000, v1, v0
	v_lshlrev_b32_e32 v0, v18, v4
	v_mul_f16_sdwa v1, v107, v8 dst_sel:DWORD dst_unused:UNUSED_PAD src0_sel:WORD_1 src1_sel:DWORD
	s_or_b32 vcc_lo, s0, vcc_lo
	v_cmp_ne_u32_e64 s1, v0, v15
	v_add_co_ci_u32_e32 v14, vcc_lo, 0, v14, vcc_lo
	v_add_nc_u32_e32 v15, 0xfffffc10, v19
	v_cmp_ne_u32_e32 vcc_lo, 0, v6
	v_cndmask_b32_e64 v0, 0, 1, s1
	v_and_or_b32 v12, 0x1ff, v13, v12
	v_fmac_f16_e32 v1, v107, v9
	v_lshl_or_b32 v17, v15, 12, v2
	v_cndmask_b32_e64 v6, 0, 1, vcc_lo
	v_or_b32_e32 v4, v4, v0
	v_cmp_gt_i32_e32 vcc_lo, 1, v15
	v_cvt_f32_f16_e32 v0, v1
	v_bfe_u32 v18, v13, 20, 11
	v_lshl_or_b32 v6, v6, 9, 0x7c00
	v_mul_f16_sdwa v9, v107, v9 dst_sel:DWORD dst_unused:UNUSED_PAD src0_sel:WORD_1 src1_sel:DWORD
	v_cndmask_b32_e32 v4, v17, v4, vcc_lo
	v_cmp_ne_u32_e32 vcc_lo, 0, v12
	v_lshrrev_b32_e32 v17, 8, v13
	v_cvt_f64_f32_e32 v[0:1], v0
	v_and_b32_e32 v19, 7, v4
	v_cndmask_b32_e64 v12, 0, 1, vcc_lo
	v_cmp_gt_i32_e32 vcc_lo, 31, v16
	v_lshrrev_b32_e32 v4, 2, v4
	v_cmp_eq_u32_e64 s0, 3, v19
	v_and_or_b32 v12, 0xffe, v17, v12
	v_cndmask_b32_e32 v14, 0x7c00, v14, vcc_lo
	v_sub_nc_u32_e32 v17, 0x3f1, v18
	v_cmp_eq_u32_e32 vcc_lo, 0x40f, v16
	v_med3_i32 v16, v17, 0, 13
	v_cndmask_b32_e32 v6, v14, v6, vcc_lo
	v_or_b32_e32 v14, 0x1000, v12
	v_cmp_lt_i32_e32 vcc_lo, 5, v19
	v_and_or_b32 v19, 0x8000, v7, v6
	v_lshrrev_b32_e32 v17, v16, v14
	s_or_b32 vcc_lo, s0, vcc_lo
	v_mul_f64 v[0:1], v[0:1], s[4:5]
	v_add_co_ci_u32_e32 v4, vcc_lo, 0, v4, vcc_lo
	v_lshlrev_b32_e32 v7, v16, v17
	v_fma_f16 v6, v107, v8, -v9
	v_add_nc_u32_e32 v9, 0xfffffc10, v18
	v_cmp_ne_u32_e32 vcc_lo, v7, v14
	v_cvt_f32_f16_e32 v6, v6
	v_lshl_or_b32 v14, v9, 12, v12
	v_cndmask_b32_e64 v8, 0, 1, vcc_lo
	v_cmp_ne_u32_e32 vcc_lo, 0, v2
	v_cvt_f64_f32_e32 v[6:7], v6
	v_or_b32_e32 v8, v17, v8
	v_cndmask_b32_e64 v2, 0, 1, vcc_lo
	v_cmp_gt_i32_e32 vcc_lo, 31, v15
	v_lshrrev_b32_e32 v17, 16, v5
	v_and_or_b32 v0, 0x1ff, v1, v0
	v_bfe_u32 v16, v1, 20, 11
	v_lshl_or_b32 v2, v2, 9, 0x7c00
	v_cndmask_b32_e32 v4, 0x7c00, v4, vcc_lo
	v_cmp_gt_i32_e32 vcc_lo, 1, v9
	v_cndmask_b32_e32 v8, v14, v8, vcc_lo
	v_cmp_eq_u32_e32 vcc_lo, 0x40f, v15
	v_lshrrev_b32_e32 v15, 8, v1
	v_and_b32_e32 v14, 0xffff, v20
	v_cndmask_b32_e32 v2, v4, v2, vcc_lo
	v_and_b32_e32 v4, 7, v8
	v_cmp_ne_u32_e32 vcc_lo, 0, v0
	v_mul_f64 v[6:7], v[6:7], s[4:5]
	v_lshl_or_b32 v14, v19, 16, v14
	v_cmp_eq_u32_e64 s0, 3, v4
	v_cndmask_b32_e64 v0, 0, 1, vcc_lo
	v_cmp_lt_i32_e32 vcc_lo, 5, v4
	v_lshrrev_b32_e32 v4, 2, v8
	v_sub_nc_u32_e32 v8, 0x3f1, v16
	v_and_or_b32 v0, 0xffe, v15, v0
	s_or_b32 vcc_lo, s0, vcc_lo
	v_add_co_ci_u32_e32 v4, vcc_lo, 0, v4, vcc_lo
	v_cmp_ne_u32_e32 vcc_lo, 0, v12
	v_or_b32_e32 v15, 0x1000, v0
	v_med3_i32 v8, v8, 0, 13
	v_cndmask_b32_e64 v12, 0, 1, vcc_lo
	v_cmp_gt_i32_e32 vcc_lo, 31, v9
	v_lshrrev_b32_e32 v18, v8, v15
	v_lshl_or_b32 v12, v12, 9, 0x7c00
	v_cndmask_b32_e32 v4, 0x7c00, v4, vcc_lo
	v_cmp_eq_u32_e32 vcc_lo, 0x40f, v9
	v_lshlrev_b32_e32 v8, v8, v18
	v_lshrrev_b32_e32 v9, 16, v13
	v_and_or_b32 v13, 0x8000, v3, v2
	v_and_or_b32 v2, 0x1ff, v7, v6
	v_cndmask_b32_e32 v4, v4, v12, vcc_lo
	v_mul_f16_sdwa v12, v106, v17 dst_sel:DWORD dst_unused:UNUSED_PAD src0_sel:WORD_1 src1_sel:DWORD
	v_cmp_ne_u32_e32 vcc_lo, v8, v15
	v_add_nc_u32_e32 v15, 0xfffffc10, v16
	v_and_b32_e32 v13, 0xffff, v13
	v_and_or_b32 v4, 0x8000, v9, v4
	v_fmac_f16_e32 v12, v106, v5
	v_cndmask_b32_e64 v6, 0, 1, vcc_lo
	v_cmp_ne_u32_e32 vcc_lo, 0, v2
	v_lshrrev_b32_e32 v9, 8, v7
	v_lshl_or_b32 v16, v15, 12, v0
	v_cvt_f32_f16_e32 v3, v12
	v_bfe_u32 v12, v7, 20, 11
	v_cndmask_b32_e64 v8, 0, 1, vcc_lo
	v_or_b32_e32 v6, v18, v6
	v_cmp_gt_i32_e32 vcc_lo, 1, v15
	v_cvt_f64_f32_e32 v[2:3], v3
	v_lshl_or_b32 v20, v4, 16, v13
	v_and_or_b32 v18, 0xffe, v9, v8
	v_sub_nc_u32_e32 v8, 0x3f1, v12
	v_cndmask_b32_e32 v6, v16, v6, vcc_lo
	v_mul_f16_sdwa v5, v106, v5 dst_sel:DWORD dst_unused:UNUSED_PAD src0_sel:WORD_1 src1_sel:DWORD
	v_lshrrev_b32_e32 v7, 16, v7
	v_or_b32_e32 v16, 0x1000, v18
	v_med3_i32 v19, v8, 0, 13
	v_add_co_u32 v8, vcc_lo, v10, s7
	v_add_co_ci_u32_e32 v9, vcc_lo, s6, v11, vcc_lo
	v_lshrrev_b32_e32 v13, v19, v16
	v_and_b32_e32 v4, 7, v6
	v_add_co_u32 v10, vcc_lo, v8, s3
	v_add_co_ci_u32_e32 v11, vcc_lo, s2, v9, vcc_lo
	v_lshlrev_b32_e32 v19, v19, v13
	v_cmp_lt_i32_e32 vcc_lo, 5, v4
	v_cmp_eq_u32_e64 s0, 3, v4
	v_mul_f64 v[2:3], v[2:3], s[4:5]
	v_fma_f16 v4, v106, v17, -v5
	v_lshrrev_b32_e32 v5, 2, v6
	v_cmp_ne_u32_e64 s1, v19, v16
	s_or_b32 vcc_lo, s0, vcc_lo
	v_add_nc_u32_e32 v16, 0xfffffc10, v12
	v_cvt_f32_f16_e32 v4, v4
	v_add_co_ci_u32_e32 v17, vcc_lo, 0, v5, vcc_lo
	v_cndmask_b32_e64 v6, 0, 1, s1
	v_cmp_ne_u32_e32 vcc_lo, 0, v0
	v_add_nc_u32_e32 v12, 0x200, v89
	v_cvt_f64_f32_e32 v[4:5], v4
	v_lshl_or_b32 v19, v16, 12, v18
	v_or_b32_e32 v6, v13, v6
	v_cndmask_b32_e64 v0, 0, 1, vcc_lo
	v_cmp_gt_i32_e32 vcc_lo, 1, v16
	ds_read2_b32 v[12:13], v12 offset0:124 offset1:187
	global_store_dword v[8:9], v14, off
	global_store_dword v[10:11], v20, off
	v_lshl_or_b32 v0, v0, 9, 0x7c00
	v_cndmask_b32_e32 v6, v19, v6, vcc_lo
	v_and_or_b32 v2, 0x1ff, v3, v2
	v_cmp_gt_i32_e32 vcc_lo, 31, v15
	v_lshrrev_b32_e32 v21, 8, v3
	v_bfe_u32 v22, v3, 20, 11
	v_and_b32_e32 v19, 7, v6
	v_lshrrev_b32_e32 v3, 16, v3
	v_cndmask_b32_e32 v17, 0x7c00, v17, vcc_lo
	v_cmp_ne_u32_e32 vcc_lo, 0, v2
	v_cmp_eq_u32_e64 s0, 3, v19
	v_cndmask_b32_e64 v2, 0, 1, vcc_lo
	v_cmp_eq_u32_e32 vcc_lo, 0x40f, v15
	s_waitcnt lgkmcnt(0)
	v_lshrrev_b32_e32 v23, 16, v12
	v_mul_f16_sdwa v9, v105, v12 dst_sel:DWORD dst_unused:UNUSED_PAD src0_sel:WORD_1 src1_sel:DWORD
	v_and_or_b32 v2, 0xffe, v21, v2
	v_cndmask_b32_e32 v15, v17, v0, vcc_lo
	v_cmp_lt_i32_e32 vcc_lo, 5, v19
	v_lshrrev_b32_e32 v17, 16, v1
	v_mul_f64 v[0:1], v[4:5], s[4:5]
	v_lshrrev_b32_e32 v4, 2, v6
	v_sub_nc_u32_e32 v21, 0x3f1, v22
	s_or_b32 vcc_lo, s0, vcc_lo
	v_or_b32_e32 v6, 0x1000, v2
	v_mul_f16_sdwa v19, v105, v23 dst_sel:DWORD dst_unused:UNUSED_PAD src0_sel:WORD_1 src1_sel:DWORD
	v_add_co_ci_u32_e32 v4, vcc_lo, 0, v4, vcc_lo
	v_med3_i32 v5, v21, 0, 13
	v_cmp_ne_u32_e32 vcc_lo, 0, v18
	v_fmac_f16_e32 v19, v105, v12
	v_and_or_b32 v15, 0x8000, v17, v15
	v_fma_f16 v9, v105, v23, -v9
	v_lshrrev_b32_e32 v21, v5, v6
	v_cndmask_b32_e64 v18, 0, 1, vcc_lo
	v_cmp_gt_i32_e32 vcc_lo, 31, v16
	v_and_b32_e32 v15, 0xffff, v15
	v_lshlrev_b32_e32 v17, v5, v21
	v_lshl_or_b32 v18, v18, 9, 0x7c00
	v_cndmask_b32_e32 v4, 0x7c00, v4, vcc_lo
	v_cmp_eq_u32_e32 vcc_lo, 0x40f, v16
	v_cvt_f32_f16_e32 v5, v19
	v_and_or_b32 v0, 0x1ff, v1, v0
	v_bfe_u32 v19, v1, 20, 11
	v_cndmask_b32_e32 v16, v4, v18, vcc_lo
	v_cmp_ne_u32_e32 vcc_lo, v17, v6
	v_cvt_f64_f32_e32 v[4:5], v5
	v_add_nc_u32_e32 v17, 0xfffffc10, v22
	v_lshrrev_b32_e32 v18, 8, v1
	v_and_or_b32 v7, 0x8000, v7, v16
	v_cndmask_b32_e64 v6, 0, 1, vcc_lo
	v_cmp_ne_u32_e32 vcc_lo, 0, v0
	v_lshl_or_b32 v16, v17, 12, v2
	v_lshl_or_b32 v14, v7, 16, v15
	v_or_b32_e32 v6, v21, v6
	v_cndmask_b32_e64 v0, 0, 1, vcc_lo
	v_cmp_gt_i32_e32 vcc_lo, 1, v17
	v_and_or_b32 v0, 0xffe, v18, v0
	v_sub_nc_u32_e32 v18, 0x3f1, v19
	v_cndmask_b32_e32 v16, v16, v6, vcc_lo
	v_add_co_u32 v6, vcc_lo, v10, s7
	v_or_b32_e32 v21, 0x1000, v0
	v_med3_i32 v18, v18, 0, 13
	v_and_b32_e32 v8, 7, v16
	v_mul_f64 v[4:5], v[4:5], s[4:5]
	v_add_co_ci_u32_e32 v7, vcc_lo, s6, v11, vcc_lo
	v_lshrrev_b32_e32 v15, v18, v21
	v_cmp_lt_i32_e32 vcc_lo, 5, v8
	v_cmp_eq_u32_e64 s0, 3, v8
	v_lshrrev_b32_e32 v12, 2, v16
	v_add_nc_u32_e32 v11, 0xe00, v89
	v_lshlrev_b32_e32 v10, v18, v15
	v_cvt_f32_f16_e32 v8, v9
	s_or_b32 vcc_lo, s0, vcc_lo
	v_add_nc_u32_e32 v18, 0xfffffc10, v19
	v_add_co_ci_u32_e32 v12, vcc_lo, 0, v12, vcc_lo
	v_cmp_ne_u32_e64 s1, v10, v21
	v_cmp_ne_u32_e32 vcc_lo, 0, v2
	ds_read2_b32 v[10:11], v11 offset0:112 offset1:175
	v_cvt_f64_f32_e32 v[8:9], v8
	global_store_dword v[6:7], v14, off
	v_cndmask_b32_e64 v16, 0, 1, s1
	v_cndmask_b32_e64 v2, 0, 1, vcc_lo
	v_cmp_gt_i32_e32 vcc_lo, 31, v17
	v_and_or_b32 v4, 0x1ff, v5, v4
	v_or_b32_e32 v15, v15, v16
	v_lshl_or_b32 v16, v18, 12, v0
	v_cndmask_b32_e32 v12, 0x7c00, v12, vcc_lo
	v_cmp_gt_i32_e32 vcc_lo, 1, v18
	v_lshl_or_b32 v2, v2, 9, 0x7c00
	v_cndmask_b32_e32 v15, v16, v15, vcc_lo
	v_cmp_ne_u32_e32 vcc_lo, 0, v4
	v_lshrrev_b32_e32 v16, 8, v5
	v_and_b32_e32 v19, 7, v15
	v_cndmask_b32_e64 v4, 0, 1, vcc_lo
	v_cmp_eq_u32_e32 vcc_lo, 0x40f, v17
	s_waitcnt lgkmcnt(0)
	v_lshrrev_b32_e32 v17, 16, v10
	v_mul_f64 v[8:9], v[8:9], s[4:5]
	v_cmp_eq_u32_e64 s0, 3, v19
	v_and_or_b32 v4, 0xffe, v16, v4
	v_cndmask_b32_e32 v2, v12, v2, vcc_lo
	v_bfe_u32 v12, v5, 20, 11
	v_mul_f16_sdwa v20, v104, v17 dst_sel:DWORD dst_unused:UNUSED_PAD src0_sel:WORD_1 src1_sel:DWORD
	v_cmp_lt_i32_e32 vcc_lo, 5, v19
	v_or_b32_e32 v21, 0x1000, v4
	v_and_or_b32 v19, 0x8000, v3, v2
	v_sub_nc_u32_e32 v16, 0x3f1, v12
	v_fmac_f16_e32 v20, v104, v10
	v_lshrrev_b32_e32 v2, 2, v15
	s_or_b32 vcc_lo, s0, vcc_lo
	v_add_nc_u32_e32 v12, 0xfffffc10, v12
	v_med3_i32 v16, v16, 0, 13
	v_cvt_f32_f16_e32 v3, v20
	v_add_co_ci_u32_e32 v20, vcc_lo, 0, v2, vcc_lo
	v_cmp_ne_u32_e32 vcc_lo, 0, v0
	v_lshrrev_b32_e32 v15, v16, v21
	v_cvt_f64_f32_e32 v[2:3], v3
	v_lshrrev_b32_e32 v5, 16, v5
	v_and_or_b32 v8, 0x1ff, v9, v8
	v_cndmask_b32_e64 v0, 0, 1, vcc_lo
	v_lshlrev_b32_e32 v16, v16, v15
	v_cmp_gt_i32_e32 vcc_lo, 31, v18
	v_bfe_u32 v22, v9, 20, 11
	v_lshl_or_b32 v0, v0, 9, 0x7c00
	v_cndmask_b32_e32 v20, 0x7c00, v20, vcc_lo
	v_cmp_ne_u32_e32 vcc_lo, v16, v21
	v_lshrrev_b32_e32 v21, 8, v9
	v_lshrrev_b32_e32 v9, 16, v9
	v_cndmask_b32_e64 v16, 0, 1, vcc_lo
	v_cmp_ne_u32_e32 vcc_lo, 0, v8
	v_cndmask_b32_e64 v8, 0, 1, vcc_lo
	v_cmp_eq_u32_e32 vcc_lo, 0x40f, v18
	v_and_or_b32 v8, 0xffe, v21, v8
	v_cndmask_b32_e32 v18, v20, v0, vcc_lo
	v_or_b32_e32 v0, v15, v16
	v_sub_nc_u32_e32 v16, 0x3f1, v22
	v_lshl_or_b32 v15, v12, 12, v4
	v_cmp_gt_i32_e32 vcc_lo, 1, v12
	v_lshrrev_b32_e32 v20, 16, v1
	v_or_b32_e32 v21, 0x1000, v8
	v_med3_i32 v16, v16, 0, 13
	v_cndmask_b32_e32 v15, v15, v0, vcc_lo
	v_mul_f64 v[0:1], v[2:3], s[4:5]
	v_mul_f16_sdwa v2, v104, v10 dst_sel:DWORD dst_unused:UNUSED_PAD src0_sel:WORD_1 src1_sel:DWORD
	v_and_or_b32 v3, 0x8000, v20, v18
	v_and_b32_e32 v10, 0xffff, v19
	v_lshrrev_b32_e32 v18, v16, v21
	v_and_b32_e32 v19, 7, v15
	v_fma_f16 v2, v104, v17, -v2
	v_lshrrev_b32_e32 v14, 2, v15
	v_lshl_or_b32 v10, v3, 16, v10
	v_lshlrev_b32_e32 v3, v16, v18
	v_cmp_lt_i32_e32 vcc_lo, 5, v19
	v_cmp_eq_u32_e64 s0, 3, v19
	v_cvt_f32_f16_e32 v2, v2
	v_add_nc_u32_e32 v16, 0xfffffc10, v22
	v_cmp_ne_u32_e64 s1, v3, v21
	s_or_b32 vcc_lo, s0, vcc_lo
	v_cvt_f64_f32_e32 v[2:3], v2
	v_add_co_ci_u32_e32 v14, vcc_lo, 0, v14, vcc_lo
	v_cndmask_b32_e64 v15, 0, 1, s1
	v_cmp_ne_u32_e32 vcc_lo, 0, v4
	v_lshl_or_b32 v17, v16, 12, v8
	v_and_or_b32 v0, 0x1ff, v1, v0
	v_or_b32_e32 v15, v18, v15
	v_cndmask_b32_e64 v4, 0, 1, vcc_lo
	v_cmp_gt_i32_e32 vcc_lo, 1, v16
	v_bfe_u32 v18, v1, 20, 11
	v_lshl_or_b32 v4, v4, 9, 0x7c00
	v_cndmask_b32_e32 v15, v17, v15, vcc_lo
	v_cmp_ne_u32_e32 vcc_lo, 0, v0
	v_lshrrev_b32_e32 v17, 8, v1
	v_and_b32_e32 v19, 7, v15
	v_cndmask_b32_e64 v0, 0, 1, vcc_lo
	v_cmp_gt_i32_e32 vcc_lo, 31, v12
	v_mul_f64 v[2:3], v[2:3], s[4:5]
	v_cmp_eq_u32_e64 s0, 3, v19
	v_and_or_b32 v0, 0xffe, v17, v0
	v_cndmask_b32_e32 v14, 0x7c00, v14, vcc_lo
	v_cmp_eq_u32_e32 vcc_lo, 0x40f, v12
	v_sub_nc_u32_e32 v17, 0x3f1, v18
	v_or_b32_e32 v12, 0x1000, v0
	v_cndmask_b32_e32 v4, v14, v4, vcc_lo
	v_cmp_lt_i32_e32 vcc_lo, 5, v19
	v_med3_i32 v14, v17, 0, 13
	v_and_or_b32 v17, 0x8000, v5, v4
	v_lshrrev_b32_e32 v4, 2, v15
	s_or_b32 vcc_lo, s0, vcc_lo
	v_lshrrev_b32_e32 v19, v14, v12
	v_lshrrev_b32_e32 v15, 16, v13
	v_and_b32_e32 v17, 0xffff, v17
	v_add_co_ci_u32_e32 v4, vcc_lo, 0, v4, vcc_lo
	v_cmp_ne_u32_e32 vcc_lo, 0, v8
	v_lshlrev_b32_e32 v14, v14, v19
	v_mul_f16_sdwa v5, v103, v15 dst_sel:DWORD dst_unused:UNUSED_PAD src0_sel:WORD_1 src1_sel:DWORD
	v_and_or_b32 v2, 0x1ff, v3, v2
	v_bfe_u32 v21, v3, 20, 11
	v_cndmask_b32_e64 v8, 0, 1, vcc_lo
	v_cmp_gt_i32_e32 vcc_lo, 31, v16
	v_fmac_f16_e32 v5, v103, v13
	v_mul_f16_sdwa v13, v103, v13 dst_sel:DWORD dst_unused:UNUSED_PAD src0_sel:WORD_1 src1_sel:DWORD
	v_lshl_or_b32 v8, v8, 9, 0x7c00
	v_cndmask_b32_e32 v20, 0x7c00, v4, vcc_lo
	v_cmp_ne_u32_e32 vcc_lo, v14, v12
	v_cvt_f32_f16_e32 v4, v5
	v_add_nc_u32_e32 v14, 0xfffffc10, v18
	v_lshrrev_b32_e32 v18, 8, v3
	v_cndmask_b32_e64 v12, 0, 1, vcc_lo
	v_cmp_ne_u32_e32 vcc_lo, 0, v2
	v_cvt_f64_f32_e32 v[4:5], v4
	v_or_b32_e32 v12, v19, v12
	v_cndmask_b32_e64 v2, 0, 1, vcc_lo
	v_cmp_eq_u32_e32 vcc_lo, 0x40f, v16
	v_lshl_or_b32 v16, v14, 12, v0
	v_and_or_b32 v2, 0xffe, v18, v2
	v_cndmask_b32_e32 v8, v20, v8, vcc_lo
	v_sub_nc_u32_e32 v18, 0x3f1, v21
	v_cmp_gt_i32_e32 vcc_lo, 1, v14
	v_and_or_b32 v8, 0x8000, v9, v8
	v_med3_i32 v18, v18, 0, 13
	v_cndmask_b32_e32 v12, v16, v12, vcc_lo
	v_or_b32_e32 v16, 0x1000, v2
	v_add_co_u32 v6, vcc_lo, v6, s3
	v_add_co_ci_u32_e32 v7, vcc_lo, s2, v7, vcc_lo
	v_lshrrev_b32_e32 v9, v18, v16
	v_and_b32_e32 v19, 7, v12
	v_mul_f64 v[4:5], v[4:5], s[4:5]
	global_store_dword v[6:7], v10, off
	v_lshl_or_b32 v17, v8, 16, v17
	v_lshlrev_b32_e32 v18, v18, v9
	v_cmp_lt_i32_e32 vcc_lo, 5, v19
	v_fma_f16 v8, v103, v15, -v13
	v_lshrrev_b32_e32 v12, 2, v12
	v_add_nc_u32_e32 v13, 0xfffffc10, v21
	v_cmp_ne_u32_e64 s0, v18, v16
	v_cvt_f32_f16_e32 v8, v8
	v_lshl_or_b32 v15, v13, 12, v2
	v_cndmask_b32_e64 v10, 0, 1, s0
	v_cmp_eq_u32_e64 s0, 3, v19
	v_or_b32_e32 v10, v9, v10
	s_or_b32 vcc_lo, s0, vcc_lo
	v_cvt_f64_f32_e32 v[8:9], v8
	v_add_co_ci_u32_e32 v12, vcc_lo, 0, v12, vcc_lo
	v_cmp_ne_u32_e32 vcc_lo, 0, v0
	v_and_or_b32 v4, 0x1ff, v5, v4
	v_lshrrev_b32_e32 v16, 8, v5
	v_bfe_u32 v18, v5, 20, 11
	v_lshrrev_b32_e32 v5, 16, v5
	v_cndmask_b32_e64 v0, 0, 1, vcc_lo
	v_cmp_gt_i32_e32 vcc_lo, 1, v13
	v_lshl_or_b32 v0, v0, 9, 0x7c00
	v_cndmask_b32_e32 v10, v15, v10, vcc_lo
	v_cmp_gt_i32_e32 vcc_lo, 31, v14
	v_and_b32_e32 v15, 7, v10
	v_cndmask_b32_e32 v12, 0x7c00, v12, vcc_lo
	v_cmp_ne_u32_e32 vcc_lo, 0, v4
	v_cmp_eq_u32_e64 s0, 3, v15
	v_cndmask_b32_e64 v4, 0, 1, vcc_lo
	v_cmp_eq_u32_e32 vcc_lo, 0x40f, v14
	v_lshrrev_b32_e32 v14, 16, v1
	v_and_or_b32 v4, 0xffe, v16, v4
	v_cndmask_b32_e32 v12, v12, v0, vcc_lo
	v_cmp_lt_i32_e32 vcc_lo, 5, v15
	v_mul_f64 v[0:1], v[8:9], s[4:5]
	v_lshrrev_b32_e32 v8, 2, v10
	v_sub_nc_u32_e32 v16, 0x3f1, v18
	v_or_b32_e32 v9, 0x1000, v4
	s_or_b32 vcc_lo, s0, vcc_lo
	v_lshrrev_b32_e32 v15, 16, v11
	v_add_co_ci_u32_e32 v8, vcc_lo, 0, v8, vcc_lo
	v_med3_i32 v10, v16, 0, 13
	v_cmp_ne_u32_e32 vcc_lo, 0, v2
	v_mul_f16_sdwa v19, v102, v15 dst_sel:DWORD dst_unused:UNUSED_PAD src0_sel:WORD_1 src1_sel:DWORD
	v_and_or_b32 v12, 0x8000, v14, v12
	v_add_nc_u32_e32 v14, 0xfffffc10, v18
	v_lshrrev_b32_e32 v16, v10, v9
	v_cndmask_b32_e64 v2, 0, 1, vcc_lo
	v_cmp_gt_i32_e32 vcc_lo, 31, v13
	v_fmac_f16_e32 v19, v102, v11
	v_and_b32_e32 v12, 0xffff, v12
	v_lshlrev_b32_e32 v10, v10, v16
	v_lshl_or_b32 v2, v2, 9, 0x7c00
	v_cndmask_b32_e32 v8, 0x7c00, v8, vcc_lo
	v_cmp_eq_u32_e32 vcc_lo, 0x40f, v13
	v_and_or_b32 v0, 0x1ff, v1, v0
	v_lshrrev_b32_e32 v13, 16, v3
	v_bfe_u32 v18, v1, 20, 11
	v_mul_f16_sdwa v11, v102, v11 dst_sel:DWORD dst_unused:UNUSED_PAD src0_sel:WORD_1 src1_sel:DWORD
	v_cndmask_b32_e32 v8, v8, v2, vcc_lo
	v_cmp_ne_u32_e32 vcc_lo, v10, v9
	v_cvt_f32_f16_e32 v2, v19
	v_lshrrev_b32_e32 v10, 8, v1
	v_fma_f16 v11, v102, v15, -v11
	v_and_or_b32 v8, 0x8000, v13, v8
	v_cndmask_b32_e64 v9, 0, 1, vcc_lo
	v_cmp_ne_u32_e32 vcc_lo, 0, v0
	v_cvt_f64_f32_e32 v[2:3], v2
	v_lshl_or_b32 v13, v14, 12, v4
	v_lshl_or_b32 v19, v8, 16, v12
	v_or_b32_e32 v9, v16, v9
	v_cndmask_b32_e64 v0, 0, 1, vcc_lo
	v_cmp_gt_i32_e32 vcc_lo, 1, v14
	v_cvt_f32_f16_e32 v11, v11
	v_add_nc_u32_e32 v15, 0xfffffc10, v18
	v_and_or_b32 v0, 0xffe, v10, v0
	v_sub_nc_u32_e32 v10, 0x3f1, v18
	v_cndmask_b32_e32 v13, v13, v9, vcc_lo
	v_add_co_u32 v6, vcc_lo, v6, s7
	v_or_b32_e32 v16, 0x1000, v0
	v_med3_i32 v10, v10, 0, 13
	v_add_co_ci_u32_e32 v7, vcc_lo, s6, v7, vcc_lo
	v_and_b32_e32 v12, 7, v13
	v_add_co_u32 v8, vcc_lo, v6, s3
	v_lshrrev_b32_e32 v20, v10, v16
	v_mul_f64 v[2:3], v[2:3], s[4:5]
	v_add_co_ci_u32_e32 v9, vcc_lo, s2, v7, vcc_lo
	v_cmp_lt_i32_e32 vcc_lo, 5, v12
	v_lshlrev_b32_e32 v10, v10, v20
	v_cmp_eq_u32_e64 s0, 3, v12
	v_lshrrev_b32_e32 v12, 2, v13
	v_cmp_ne_u32_e64 s1, v10, v16
	s_or_b32 vcc_lo, s0, vcc_lo
	v_lshl_or_b32 v16, v15, 12, v0
	v_add_co_ci_u32_e32 v12, vcc_lo, 0, v12, vcc_lo
	v_cndmask_b32_e64 v10, 0, 1, s1
	v_cmp_ne_u32_e32 vcc_lo, 0, v4
	v_or_b32_e32 v13, v20, v10
	v_cvt_f64_f32_e32 v[10:11], v11
	v_cndmask_b32_e64 v4, 0, 1, vcc_lo
	v_cmp_gt_i32_e32 vcc_lo, 1, v15
	v_and_or_b32 v2, 0x1ff, v3, v2
	v_lshrrev_b32_e32 v21, 8, v3
	v_bfe_u32 v22, v3, 20, 11
	v_lshl_or_b32 v4, v4, 9, 0x7c00
	v_cndmask_b32_e32 v16, v16, v13, vcc_lo
	v_add_nc_u32_e32 v13, 0x400, v89
	v_cmp_gt_i32_e32 vcc_lo, 31, v14
	v_and_b32_e32 v20, 7, v16
	v_lshrrev_b32_e32 v16, 2, v16
	v_cndmask_b32_e32 v18, 0x7c00, v12, vcc_lo
	ds_read2_b32 v[12:13], v13 offset0:122 offset1:185
	v_cmp_ne_u32_e32 vcc_lo, 0, v2
	v_cmp_eq_u32_e64 s0, 3, v20
	global_store_dword v[6:7], v17, off
	global_store_dword v[8:9], v19, off
	v_cndmask_b32_e64 v2, 0, 1, vcc_lo
	v_cmp_eq_u32_e32 vcc_lo, 0x40f, v14
	v_mul_f64 v[10:11], v[10:11], s[4:5]
	v_sub_nc_u32_e32 v14, 0x3f1, v22
	v_and_or_b32 v2, 0xffe, v21, v2
	v_cndmask_b32_e32 v4, v18, v4, vcc_lo
	v_cmp_lt_i32_e32 vcc_lo, 5, v20
	v_med3_i32 v14, v14, 0, 13
	v_or_b32_e32 v18, 0x1000, v2
	v_and_or_b32 v4, 0x8000, v5, v4
	s_or_b32 vcc_lo, s0, vcc_lo
	v_add_co_ci_u32_e32 v16, vcc_lo, 0, v16, vcc_lo
	v_cmp_ne_u32_e32 vcc_lo, 0, v0
	s_waitcnt lgkmcnt(0)
	v_lshrrev_b32_e32 v20, 16, v12
	v_lshrrev_b32_e32 v21, v14, v18
	v_and_b32_e32 v4, 0xffff, v4
	v_cndmask_b32_e64 v0, 0, 1, vcc_lo
	v_cmp_gt_i32_e32 vcc_lo, 31, v15
	v_mul_f16_sdwa v23, v101, v20 dst_sel:DWORD dst_unused:UNUSED_PAD src0_sel:WORD_1 src1_sel:DWORD
	v_lshlrev_b32_e32 v5, v14, v21
	v_lshl_or_b32 v0, v0, 9, 0x7c00
	v_cndmask_b32_e32 v16, 0x7c00, v16, vcc_lo
	v_cmp_eq_u32_e32 vcc_lo, 0x40f, v15
	v_fmac_f16_e32 v23, v101, v12
	v_lshrrev_b32_e32 v15, 16, v1
	v_cndmask_b32_e32 v14, v16, v0, vcc_lo
	v_and_or_b32 v0, 0x1ff, v11, v10
	v_cmp_ne_u32_e32 vcc_lo, v5, v18
	v_cvt_f32_f16_e32 v1, v23
	v_add_nc_u32_e32 v10, 0xfffffc10, v22
	v_lshrrev_b32_e32 v18, 8, v11
	v_bfe_u32 v22, v11, 20, 11
	v_cndmask_b32_e64 v5, 0, 1, vcc_lo
	v_cmp_ne_u32_e32 vcc_lo, 0, v0
	v_cvt_f64_f32_e32 v[0:1], v1
	v_and_or_b32 v14, 0x8000, v15, v14
	v_lshl_or_b32 v15, v10, 12, v2
	v_or_b32_e32 v5, v21, v5
	v_cndmask_b32_e64 v16, 0, 1, vcc_lo
	v_cmp_gt_i32_e32 vcc_lo, 1, v10
	v_lshl_or_b32 v14, v14, 16, v4
	v_lshrrev_b32_e32 v11, 16, v11
	v_and_or_b32 v16, 0xffe, v18, v16
	v_sub_nc_u32_e32 v18, 0x3f1, v22
	v_cndmask_b32_e32 v15, v15, v5, vcc_lo
	v_add_co_u32 v4, vcc_lo, v8, s7
	v_or_b32_e32 v21, 0x1000, v16
	v_med3_i32 v18, v18, 0, 13
	v_and_b32_e32 v6, 7, v15
	v_add_co_ci_u32_e32 v5, vcc_lo, s6, v9, vcc_lo
	v_mul_f16_sdwa v8, v101, v12 dst_sel:DWORD dst_unused:UNUSED_PAD src0_sel:WORD_1 src1_sel:DWORD
	v_lshrrev_b32_e32 v7, v18, v21
	v_cmp_lt_i32_e32 vcc_lo, 5, v6
	v_mul_f64 v[0:1], v[0:1], s[4:5]
	v_cmp_eq_u32_e64 s0, 3, v6
	v_fma_f16 v6, v101, v20, -v8
	v_lshlrev_b32_e32 v9, v18, v7
	v_lshrrev_b32_e32 v8, 2, v15
	v_add_nc_u32_e32 v12, 0xfffffc10, v22
	s_or_b32 vcc_lo, s0, vcc_lo
	v_cvt_f32_f16_e32 v6, v6
	v_cmp_ne_u32_e64 s1, v9, v21
	v_add_co_ci_u32_e32 v17, vcc_lo, 0, v8, vcc_lo
	v_cmp_ne_u32_e32 vcc_lo, 0, v2
	v_add_nc_u32_e32 v15, 0x1000, v89
	v_cndmask_b32_e64 v9, 0, 1, s1
	v_lshl_or_b32 v19, v12, 12, v16
	global_store_dword v[4:5], v14, off
	v_cndmask_b32_e64 v2, 0, 1, vcc_lo
	v_cmp_gt_i32_e32 vcc_lo, 1, v12
	v_or_b32_e32 v18, v7, v9
	v_cvt_f64_f32_e32 v[6:7], v6
	ds_read2_b32 v[8:9], v15 offset0:110 offset1:173
	v_lshl_or_b32 v2, v2, 9, 0x7c00
	v_and_or_b32 v0, 0x1ff, v1, v0
	v_cndmask_b32_e32 v15, v19, v18, vcc_lo
	v_cmp_gt_i32_e32 vcc_lo, 31, v10
	v_lshrrev_b32_e32 v19, 8, v1
	v_bfe_u32 v20, v1, 20, 11
	v_and_b32_e32 v18, 7, v15
	v_cndmask_b32_e32 v17, 0x7c00, v17, vcc_lo
	v_cmp_ne_u32_e32 vcc_lo, 0, v0
	v_cmp_eq_u32_e64 s0, 3, v18
	v_cndmask_b32_e64 v0, 0, 1, vcc_lo
	v_cmp_eq_u32_e32 vcc_lo, 0x40f, v10
	v_and_or_b32 v0, 0xffe, v19, v0
	v_cndmask_b32_e32 v10, v17, v2, vcc_lo
	v_cmp_lt_i32_e32 vcc_lo, 5, v18
	v_lshrrev_b32_e32 v17, 16, v3
	v_mul_f64 v[2:3], v[6:7], s[4:5]
	v_lshrrev_b32_e32 v6, 2, v15
	v_sub_nc_u32_e32 v19, 0x3f1, v20
	s_waitcnt lgkmcnt(0)
	v_lshrrev_b32_e32 v21, 16, v8
	s_or_b32 vcc_lo, s0, vcc_lo
	v_or_b32_e32 v15, 0x1000, v0
	v_add_co_ci_u32_e32 v6, vcc_lo, 0, v6, vcc_lo
	v_med3_i32 v7, v19, 0, 13
	v_mul_f16_sdwa v18, v100, v21 dst_sel:DWORD dst_unused:UNUSED_PAD src0_sel:WORD_1 src1_sel:DWORD
	v_cmp_ne_u32_e32 vcc_lo, 0, v16
	v_and_or_b32 v10, 0x8000, v17, v10
	v_lshrrev_b32_e32 v19, v7, v15
	v_fmac_f16_e32 v18, v100, v8
	v_cndmask_b32_e64 v16, 0, 1, vcc_lo
	v_cmp_gt_i32_e32 vcc_lo, 31, v12
	v_and_b32_e32 v10, 0xffff, v10
	v_mul_f16_sdwa v8, v100, v8 dst_sel:DWORD dst_unused:UNUSED_PAD src0_sel:WORD_1 src1_sel:DWORD
	v_cvt_f32_f16_e32 v17, v18
	v_lshl_or_b32 v16, v16, 9, 0x7c00
	v_cndmask_b32_e32 v6, 0x7c00, v6, vcc_lo
	v_lshlrev_b32_e32 v18, v7, v19
	v_cmp_eq_u32_e32 vcc_lo, 0x40f, v12
	v_and_or_b32 v2, 0x1ff, v3, v2
	v_fma_f16 v8, v100, v21, -v8
	v_cndmask_b32_e32 v12, v6, v16, vcc_lo
	v_cmp_ne_u32_e32 vcc_lo, v18, v15
	v_cvt_f64_f32_e32 v[6:7], v17
	v_add_nc_u32_e32 v16, 0xfffffc10, v20
	v_lshrrev_b32_e32 v17, 8, v3
	v_bfe_u32 v18, v3, 20, 11
	v_cndmask_b32_e64 v15, 0, 1, vcc_lo
	v_cmp_ne_u32_e32 vcc_lo, 0, v2
	v_and_or_b32 v11, 0x8000, v11, v12
	v_cvt_f32_f16_e32 v8, v8
	v_lshrrev_b32_e32 v3, 16, v3
	v_or_b32_e32 v12, v19, v15
	v_cndmask_b32_e64 v2, 0, 1, vcc_lo
	v_lshl_or_b32 v15, v16, 12, v0
	v_cmp_gt_i32_e32 vcc_lo, 1, v16
	v_lshl_or_b32 v14, v11, 16, v10
	v_and_or_b32 v2, 0xffe, v17, v2
	v_sub_nc_u32_e32 v17, 0x3f1, v18
	v_cndmask_b32_e32 v12, v15, v12, vcc_lo
	v_add_co_u32 v4, vcc_lo, v4, s3
	v_or_b32_e32 v15, 0x1000, v2
	v_med3_i32 v17, v17, 0, 13
	v_mul_f64 v[6:7], v[6:7], s[4:5]
	v_and_b32_e32 v10, 7, v12
	v_add_co_ci_u32_e32 v5, vcc_lo, s2, v5, vcc_lo
	v_lshrrev_b32_e32 v11, v17, v15
	v_cmp_lt_i32_e32 vcc_lo, 5, v10
	v_cmp_eq_u32_e64 s0, 3, v10
	v_lshrrev_b32_e32 v10, 2, v12
	v_lshlrev_b32_e32 v17, v17, v11
	global_store_dword v[4:5], v14, off
	s_or_b32 vcc_lo, s0, vcc_lo
	v_cmp_ne_u32_e64 s1, v17, v15
	v_add_co_ci_u32_e32 v17, vcc_lo, 0, v10, vcc_lo
	v_add_nc_u32_e32 v15, 0xfffffc10, v18
	v_cmp_ne_u32_e32 vcc_lo, 0, v0
	v_cndmask_b32_e64 v12, 0, 1, s1
	v_add_co_u32 v4, s1, v4, s7
	v_and_or_b32 v6, 0x1ff, v7, v6
	v_cndmask_b32_e64 v0, 0, 1, vcc_lo
	v_or_b32_e32 v12, v11, v12
	v_cvt_f64_f32_e32 v[10:11], v8
	v_lshl_or_b32 v8, v15, 12, v2
	v_cmp_gt_i32_e32 vcc_lo, 1, v15
	v_bfe_u32 v18, v7, 20, 11
	v_lshl_or_b32 v0, v0, 9, 0x7c00
	v_add_co_ci_u32_e64 v5, s1, s6, v5, s1
	v_cndmask_b32_e32 v8, v8, v12, vcc_lo
	v_cmp_ne_u32_e32 vcc_lo, 0, v6
	v_lshrrev_b32_e32 v12, 8, v7
	v_and_b32_e32 v19, 7, v8
	v_cndmask_b32_e64 v6, 0, 1, vcc_lo
	v_cmp_gt_i32_e32 vcc_lo, 31, v16
	v_lshrrev_b32_e32 v8, 2, v8
	v_cmp_eq_u32_e64 s0, 3, v19
	v_and_or_b32 v6, 0xffe, v12, v6
	v_cndmask_b32_e32 v17, 0x7c00, v17, vcc_lo
	v_cmp_eq_u32_e32 vcc_lo, 0x40f, v16
	v_sub_nc_u32_e32 v16, 0x3f1, v18
	v_add_nc_u32_e32 v18, 0xfffffc10, v18
	v_or_b32_e32 v20, 0x1000, v6
	v_cndmask_b32_e32 v12, v17, v0, vcc_lo
	v_cmp_lt_i32_e32 vcc_lo, 5, v19
	v_lshrrev_b32_e32 v17, 16, v1
	v_mul_f64 v[0:1], v[10:11], s[4:5]
	v_med3_i32 v10, v16, 0, 13
	v_lshrrev_b32_e32 v16, 16, v13
	s_or_b32 vcc_lo, s0, vcc_lo
	v_and_or_b32 v12, 0x8000, v17, v12
	v_add_co_ci_u32_e32 v8, vcc_lo, 0, v8, vcc_lo
	v_lshrrev_b32_e32 v17, v10, v20
	v_cmp_ne_u32_e32 vcc_lo, 0, v2
	v_mul_f16_sdwa v11, v99, v16 dst_sel:DWORD dst_unused:UNUSED_PAD src0_sel:WORD_1 src1_sel:DWORD
	v_and_b32_e32 v12, 0xffff, v12
	v_lshlrev_b32_e32 v10, v10, v17
	v_cndmask_b32_e64 v2, 0, 1, vcc_lo
	v_cmp_gt_i32_e32 vcc_lo, 31, v15
	v_fmac_f16_e32 v11, v99, v13
	v_lshl_or_b32 v2, v2, 9, 0x7c00
	v_cndmask_b32_e32 v8, 0x7c00, v8, vcc_lo
	v_cmp_ne_u32_e32 vcc_lo, v10, v20
	v_cvt_f32_f16_e32 v11, v11
	v_and_or_b32 v0, 0x1ff, v1, v0
	v_cndmask_b32_e64 v19, 0, 1, vcc_lo
	v_cmp_eq_u32_e32 vcc_lo, 0x40f, v15
	v_cvt_f64_f32_e32 v[10:11], v11
	v_lshl_or_b32 v15, v18, 12, v6
	v_cndmask_b32_e32 v2, v8, v2, vcc_lo
	v_cmp_ne_u32_e32 vcc_lo, 0, v0
	v_or_b32_e32 v8, v17, v19
	v_lshrrev_b32_e32 v17, 8, v1
	v_bfe_u32 v19, v1, 20, 11
	v_and_or_b32 v2, 0x8000, v3, v2
	v_cndmask_b32_e64 v0, 0, 1, vcc_lo
	v_cmp_gt_i32_e32 vcc_lo, 1, v18
	v_lshrrev_b32_e32 v1, 16, v1
	v_sub_nc_u32_e32 v3, 0x3f1, v19
	v_lshl_or_b32 v12, v2, 16, v12
	v_and_or_b32 v0, 0xffe, v17, v0
	v_cndmask_b32_e32 v8, v15, v8, vcc_lo
	v_med3_i32 v17, v3, 0, 13
	global_store_dword v[4:5], v12, off
	v_or_b32_e32 v14, 0x1000, v0
	v_and_b32_e32 v15, 7, v8
	v_mul_f64 v[2:3], v[10:11], s[4:5]
	v_lshrrev_b32_e32 v8, 2, v8
	v_mul_f16_sdwa v10, v99, v13 dst_sel:DWORD dst_unused:UNUSED_PAD src0_sel:WORD_1 src1_sel:DWORD
	v_add_co_u32 v4, s1, v4, s3
	v_cmp_lt_i32_e32 vcc_lo, 5, v15
	v_cmp_eq_u32_e64 s0, 3, v15
	v_lshrrev_b32_e32 v15, v17, v14
	v_fma_f16 v10, v99, v16, -v10
	v_add_co_ci_u32_e64 v5, s1, s2, v5, s1
	s_or_b32 vcc_lo, s0, vcc_lo
	v_lshlrev_b32_e32 v11, v17, v15
	v_add_co_ci_u32_e32 v8, vcc_lo, 0, v8, vcc_lo
	v_cvt_f32_f16_e32 v10, v10
	v_cmp_ne_u32_e32 vcc_lo, v11, v14
	v_add_nc_u32_e32 v14, 0xfffffc10, v19
	v_lshrrev_b32_e32 v19, 16, v9
	v_cvt_f64_f32_e32 v[10:11], v10
	v_cndmask_b32_e64 v13, 0, 1, vcc_lo
	v_cmp_ne_u32_e32 vcc_lo, 0, v6
	v_and_or_b32 v2, 0x1ff, v3, v2
	v_bfe_u32 v16, v3, 20, 11
	v_or_b32_e32 v13, v15, v13
	v_cndmask_b32_e64 v6, 0, 1, vcc_lo
	v_cmp_gt_i32_e32 vcc_lo, 31, v18
	v_lshl_or_b32 v15, v14, 12, v0
	v_lshl_or_b32 v6, v6, 9, 0x7c00
	v_cndmask_b32_e32 v8, 0x7c00, v8, vcc_lo
	v_cmp_gt_i32_e32 vcc_lo, 1, v14
	v_cndmask_b32_e32 v13, v15, v13, vcc_lo
	v_cmp_ne_u32_e32 vcc_lo, 0, v2
	v_lshrrev_b32_e32 v15, 8, v3
	v_and_b32_e32 v17, 7, v13
	v_cndmask_b32_e64 v2, 0, 1, vcc_lo
	v_cmp_eq_u32_e32 vcc_lo, 0x40f, v18
	v_sub_nc_u32_e32 v18, 0x3f1, v16
	v_lshrrev_b32_e32 v13, 2, v13
	v_cmp_eq_u32_e64 s0, 3, v17
	v_and_or_b32 v2, 0xffe, v15, v2
	v_cndmask_b32_e32 v8, v8, v6, vcc_lo
	v_cmp_lt_i32_e32 vcc_lo, 5, v17
	v_lshrrev_b32_e32 v15, 16, v7
	v_mul_f64 v[6:7], v[10:11], s[4:5]
	v_mul_f16_sdwa v11, v98, v19 dst_sel:DWORD dst_unused:UNUSED_PAD src0_sel:WORD_1 src1_sel:DWORD
	v_or_b32_e32 v20, 0x1000, v2
	v_med3_i32 v10, v18, 0, 13
	s_or_b32 vcc_lo, s0, vcc_lo
	v_and_or_b32 v8, 0x8000, v15, v8
	v_fmac_f16_e32 v11, v98, v9
	v_add_co_ci_u32_e32 v13, vcc_lo, 0, v13, vcc_lo
	v_lshrrev_b32_e32 v15, v10, v20
	v_cmp_ne_u32_e32 vcc_lo, 0, v0
	v_cvt_f32_f16_e32 v11, v11
	v_add_nc_u32_e32 v16, 0xfffffc10, v16
	v_and_b32_e32 v8, 0xffff, v8
	v_lshlrev_b32_e32 v17, v10, v15
	v_cndmask_b32_e64 v0, 0, 1, vcc_lo
	v_cmp_gt_i32_e32 vcc_lo, 31, v14
	v_cvt_f64_f32_e32 v[10:11], v11
	v_lshl_or_b32 v0, v0, 9, 0x7c00
	v_cndmask_b32_e32 v13, 0x7c00, v13, vcc_lo
	v_cmp_ne_u32_e32 vcc_lo, v17, v20
	v_and_or_b32 v6, 0x1ff, v7, v6
	v_cndmask_b32_e64 v17, 0, 1, vcc_lo
	v_cmp_eq_u32_e32 vcc_lo, 0x40f, v14
	v_lshl_or_b32 v14, v16, 12, v2
	v_cndmask_b32_e32 v0, v13, v0, vcc_lo
	v_cmp_ne_u32_e32 vcc_lo, 0, v6
	v_or_b32_e32 v13, v15, v17
	v_lshrrev_b32_e32 v15, 8, v7
	v_bfe_u32 v17, v7, 20, 11
	v_lshrrev_b32_e32 v7, 16, v7
	v_cndmask_b32_e64 v6, 0, 1, vcc_lo
	v_cmp_gt_i32_e32 vcc_lo, 1, v16
	v_and_or_b32 v6, 0xffe, v15, v6
	v_and_or_b32 v15, 0x8000, v1, v0
	v_mul_f64 v[0:1], v[10:11], s[4:5]
	v_cndmask_b32_e32 v13, v14, v13, vcc_lo
	v_sub_nc_u32_e32 v14, 0x3f1, v17
	v_or_b32_e32 v20, 0x1000, v6
	v_lshl_or_b32 v21, v15, 16, v8
	v_mul_f16_sdwa v8, v98, v9 dst_sel:DWORD dst_unused:UNUSED_PAD src0_sel:WORD_1 src1_sel:DWORD
	v_and_b32_e32 v18, 7, v13
	v_med3_i32 v14, v14, 0, 13
	v_lshrrev_b32_e32 v9, 2, v13
	global_store_dword v[4:5], v21, off
	v_fma_f16 v8, v98, v19, -v8
	v_cmp_lt_i32_e32 vcc_lo, 5, v18
	v_lshrrev_b32_e32 v10, v14, v20
	v_cmp_eq_u32_e64 s0, 3, v18
	v_cvt_f32_f16_e32 v13, v8
	v_lshlrev_b32_e32 v11, v14, v10
	s_or_b32 vcc_lo, s0, vcc_lo
	v_add_nc_u32_e32 v14, 0xfffffc10, v17
	v_add_co_ci_u32_e32 v12, vcc_lo, 0, v9, vcc_lo
	v_cmp_ne_u32_e32 vcc_lo, v11, v20
	v_and_or_b32 v0, 0x1ff, v1, v0
	v_add_nc_u32_e32 v9, 0x600, v89
	v_lshrrev_b32_e32 v17, 8, v1
	v_bfe_u32 v18, v1, 20, 11
	v_cndmask_b32_e64 v11, 0, 1, vcc_lo
	v_cmp_ne_u32_e32 vcc_lo, 0, v0
	ds_read2_b32 v[8:9], v9 offset0:120 offset1:183
	v_or_b32_e32 v15, v10, v11
	v_cndmask_b32_e64 v0, 0, 1, vcc_lo
	v_cmp_ne_u32_e32 vcc_lo, 0, v2
	v_cvt_f64_f32_e32 v[10:11], v13
	v_lshl_or_b32 v13, v14, 12, v6
	v_and_or_b32 v0, 0xffe, v17, v0
	v_cndmask_b32_e64 v2, 0, 1, vcc_lo
	v_cmp_gt_i32_e32 vcc_lo, 1, v14
	v_or_b32_e32 v19, 0x1000, v0
	v_lshl_or_b32 v2, v2, 9, 0x7c00
	v_cndmask_b32_e32 v13, v13, v15, vcc_lo
	v_cmp_gt_i32_e32 vcc_lo, 31, v16
	v_sub_nc_u32_e32 v15, 0x3f1, v18
	v_add_nc_u32_e32 v18, 0xfffffc10, v18
	s_waitcnt lgkmcnt(0)
	v_lshrrev_b32_e32 v20, 16, v8
	v_and_b32_e32 v17, 7, v13
	v_cndmask_b32_e32 v12, 0x7c00, v12, vcc_lo
	v_cmp_eq_u32_e32 vcc_lo, 0x40f, v16
	v_med3_i32 v15, v15, 0, 13
	v_cmp_eq_u32_e64 s0, 3, v17
	v_cndmask_b32_e32 v12, v12, v2, vcc_lo
	v_cmp_lt_i32_e32 vcc_lo, 5, v17
	v_lshrrev_b32_e32 v16, v15, v19
	v_lshrrev_b32_e32 v17, 16, v3
	;; [unrolled: 1-line block ×3, first 2 shown]
	v_mul_f64 v[10:11], v[10:11], s[4:5]
	s_or_b32 vcc_lo, s0, vcc_lo
	v_lshlrev_b32_e32 v13, v15, v16
	v_mul_f16_sdwa v2, v97, v20 dst_sel:DWORD dst_unused:UNUSED_PAD src0_sel:WORD_1 src1_sel:DWORD
	v_add_co_ci_u32_e32 v15, vcc_lo, 0, v3, vcc_lo
	v_cmp_ne_u32_e32 vcc_lo, 0, v6
	v_and_or_b32 v12, 0x8000, v17, v12
	v_fmac_f16_e32 v2, v97, v8
	v_mul_f16_sdwa v8, v97, v8 dst_sel:DWORD dst_unused:UNUSED_PAD src0_sel:WORD_1 src1_sel:DWORD
	v_cndmask_b32_e64 v6, 0, 1, vcc_lo
	v_cmp_ne_u32_e32 vcc_lo, v13, v19
	v_cvt_f32_f16_e32 v2, v2
	v_fma_f16 v8, v97, v20, -v8
	v_and_b32_e32 v12, 0xffff, v12
	v_lshl_or_b32 v6, v6, 9, 0x7c00
	v_cndmask_b32_e64 v13, 0, 1, vcc_lo
	v_cmp_gt_i32_e32 vcc_lo, 31, v14
	v_cvt_f64_f32_e32 v[2:3], v2
	v_cvt_f32_f16_e32 v8, v8
	v_or_b32_e32 v13, v16, v13
	v_cndmask_b32_e32 v15, 0x7c00, v15, vcc_lo
	v_cmp_eq_u32_e32 vcc_lo, 0x40f, v14
	v_lshl_or_b32 v16, v18, 12, v0
	v_and_or_b32 v10, 0x1ff, v11, v10
	v_lshrrev_b32_e32 v14, 8, v11
	v_cndmask_b32_e32 v6, v15, v6, vcc_lo
	v_cmp_gt_i32_e32 vcc_lo, 1, v18
	v_bfe_u32 v15, v11, 20, 11
	v_and_or_b32 v6, 0x8000, v7, v6
	v_cndmask_b32_e32 v13, v16, v13, vcc_lo
	v_cmp_ne_u32_e32 vcc_lo, 0, v10
	v_sub_nc_u32_e32 v7, 0x3f1, v15
	v_lshl_or_b32 v19, v6, 16, v12
	v_and_b32_e32 v16, 7, v13
	v_cndmask_b32_e64 v10, 0, 1, vcc_lo
	v_mul_f64 v[2:3], v[2:3], s[4:5]
	v_med3_i32 v7, v7, 0, 13
	v_lshrrev_b32_e32 v13, 2, v13
	v_cmp_lt_i32_e32 vcc_lo, 5, v16
	v_and_or_b32 v10, 0xffe, v14, v10
	v_cmp_eq_u32_e64 s0, 3, v16
	v_or_b32_e32 v14, 0x1000, v10
	s_or_b32 vcc_lo, s0, vcc_lo
	v_add_co_ci_u32_e32 v13, vcc_lo, 0, v13, vcc_lo
	v_lshrrev_b32_e32 v16, v7, v14
	v_cmp_gt_i32_e32 vcc_lo, 31, v18
	v_lshlrev_b32_e32 v17, v7, v16
	v_cndmask_b32_e32 v20, 0x7c00, v13, vcc_lo
	v_cvt_f64_f32_e32 v[6:7], v8
	v_and_or_b32 v2, 0x1ff, v3, v2
	v_lshrrev_b32_e32 v13, 8, v3
	v_cmp_ne_u32_e32 vcc_lo, v17, v14
	v_add_nc_u32_e32 v17, 0xfffffc10, v15
	v_bfe_u32 v14, v3, 20, 11
	v_lshrrev_b32_e32 v3, 16, v3
	v_cndmask_b32_e64 v8, 0, 1, vcc_lo
	v_cmp_ne_u32_e32 vcc_lo, 0, v0
	v_lshl_or_b32 v12, v17, 12, v10
	v_sub_nc_u32_e32 v15, 0x3f1, v14
	v_or_b32_e32 v8, v16, v8
	v_cndmask_b32_e64 v0, 0, 1, vcc_lo
	v_cmp_ne_u32_e32 vcc_lo, 0, v2
	v_med3_i32 v15, v15, 0, 13
	v_lshl_or_b32 v0, v0, 9, 0x7c00
	v_cndmask_b32_e64 v2, 0, 1, vcc_lo
	v_cmp_gt_i32_e32 vcc_lo, 1, v17
	v_mul_f64 v[6:7], v[6:7], s[4:5]
	v_and_or_b32 v2, 0xffe, v13, v2
	v_cndmask_b32_e32 v8, v12, v8, vcc_lo
	v_add_nc_u32_e32 v12, 0x1200, v89
	v_cmp_eq_u32_e32 vcc_lo, 0x40f, v18
	v_or_b32_e32 v22, 0x1000, v2
	v_and_b32_e32 v16, 7, v8
	ds_read2_b32 v[12:13], v12 offset0:108 offset1:171
	v_cndmask_b32_e32 v18, v20, v0, vcc_lo
	v_lshrrev_b32_e32 v8, 2, v8
	v_lshrrev_b32_e32 v20, 16, v1
	v_cmp_lt_i32_e32 vcc_lo, 5, v16
	v_cmp_eq_u32_e64 s0, 3, v16
	v_lshrrev_b32_e32 v16, v15, v22
	v_add_co_u32 v0, s1, v4, s7
	v_and_or_b32 v18, 0x8000, v20, v18
	s_or_b32 vcc_lo, s0, vcc_lo
	v_lshlrev_b32_e32 v15, v15, v16
	v_add_co_ci_u32_e32 v8, vcc_lo, 0, v8, vcc_lo
	v_and_or_b32 v6, 0x1ff, v7, v6
	v_lshrrev_b32_e32 v23, 8, v7
	v_cmp_ne_u32_e32 vcc_lo, v15, v22
	v_add_nc_u32_e32 v22, 0xfffffc10, v14
	v_bfe_u32 v24, v7, 20, 11
	v_and_b32_e32 v18, 0xffff, v18
	s_waitcnt lgkmcnt(0)
	v_lshrrev_b32_e32 v20, 16, v12
	v_cndmask_b32_e64 v15, 0, 1, vcc_lo
	v_cmp_ne_u32_e32 vcc_lo, 0, v10
	v_add_co_ci_u32_e64 v1, s1, s6, v5, s1
	v_mul_f16_sdwa v14, v96, v20 dst_sel:DWORD dst_unused:UNUSED_PAD src0_sel:WORD_1 src1_sel:DWORD
	v_or_b32_e32 v15, v16, v15
	v_cndmask_b32_e64 v10, 0, 1, vcc_lo
	v_cmp_ne_u32_e32 vcc_lo, 0, v6
	v_lshl_or_b32 v16, v22, 12, v2
	v_fmac_f16_e32 v14, v96, v12
	global_store_dword v[0:1], v19, off
	v_lshl_or_b32 v10, v10, 9, 0x7c00
	v_cndmask_b32_e64 v6, 0, 1, vcc_lo
	v_cmp_gt_i32_e32 vcc_lo, 1, v22
	v_cvt_f32_f16_e32 v14, v14
	v_lshrrev_b32_e32 v7, 16, v7
	v_and_or_b32 v6, 0xffe, v23, v6
	v_cndmask_b32_e32 v16, v16, v15, vcc_lo
	v_cmp_gt_i32_e32 vcc_lo, 31, v17
	v_sub_nc_u32_e32 v23, 0x3f1, v24
	v_cvt_f64_f32_e32 v[14:15], v14
	v_or_b32_e32 v26, 0x1000, v6
	v_and_b32_e32 v25, 7, v16
	v_cndmask_b32_e32 v8, 0x7c00, v8, vcc_lo
	v_cmp_eq_u32_e32 vcc_lo, 0x40f, v17
	v_med3_i32 v23, v23, 0, 13
	v_cmp_eq_u32_e64 s0, 3, v25
	v_cndmask_b32_e32 v8, v8, v10, vcc_lo
	v_lshrrev_b32_e32 v10, 16, v11
	v_mul_f16_sdwa v11, v96, v12 dst_sel:DWORD dst_unused:UNUSED_PAD src0_sel:WORD_1 src1_sel:DWORD
	v_lshrrev_b32_e32 v12, v23, v26
	v_cmp_lt_i32_e32 vcc_lo, 5, v25
	v_and_or_b32 v8, 0x8000, v10, v8
	v_lshrrev_b32_e32 v10, 2, v16
	v_lshlrev_b32_e32 v16, v23, v12
	s_or_b32 vcc_lo, s0, vcc_lo
	v_fma_f16 v11, v96, v20, -v11
	v_add_nc_u32_e32 v23, 0xfffffc10, v24
	v_add_co_ci_u32_e32 v17, vcc_lo, 0, v10, vcc_lo
	v_cmp_ne_u32_e32 vcc_lo, v16, v26
	v_cvt_f32_f16_e32 v20, v11
	v_mul_f64 v[10:11], v[14:15], s[4:5]
	v_cndmask_b32_e64 v16, 0, 1, vcc_lo
	v_cmp_ne_u32_e32 vcc_lo, 0, v2
	v_cvt_f64_f32_e32 v[14:15], v20
	v_or_b32_e32 v12, v12, v16
	v_cndmask_b32_e64 v2, 0, 1, vcc_lo
	v_cmp_gt_i32_e32 vcc_lo, 31, v22
	v_lshl_or_b32 v16, v23, 12, v6
	v_lshl_or_b32 v2, v2, 9, 0x7c00
	v_cndmask_b32_e32 v17, 0x7c00, v17, vcc_lo
	v_cmp_gt_i32_e32 vcc_lo, 1, v23
	v_cndmask_b32_e32 v12, v16, v12, vcc_lo
	v_cmp_eq_u32_e32 vcc_lo, 0x40f, v22
	v_and_or_b32 v5, 0x1ff, v11, v10
	v_lshl_or_b32 v16, v8, 16, v18
	v_lshrrev_b32_e32 v10, 8, v11
	v_and_b32_e32 v4, 7, v12
	v_cndmask_b32_e32 v2, v17, v2, vcc_lo
	v_cmp_ne_u32_e64 s1, 0, v5
	v_cmp_lt_i32_e32 vcc_lo, 5, v4
	v_and_or_b32 v8, 0x8000, v3, v2
	v_mul_f64 v[2:3], v[14:15], s[4:5]
	v_cmp_eq_u32_e64 s0, 3, v4
	v_lshrrev_b32_e32 v4, 2, v12
	v_cndmask_b32_e64 v5, 0, 1, s1
	v_bfe_u32 v12, v11, 20, 11
	v_lshrrev_b32_e32 v14, 16, v9
	s_or_b32 vcc_lo, s0, vcc_lo
	v_lshrrev_b32_e32 v11, 16, v11
	v_add_co_ci_u32_e32 v4, vcc_lo, 0, v4, vcc_lo
	v_and_or_b32 v10, 0xffe, v10, v5
	v_sub_nc_u32_e32 v5, 0x3f1, v12
	v_cmp_ne_u32_e32 vcc_lo, 0, v6
	v_mul_f16_sdwa v17, v95, v14 dst_sel:DWORD dst_unused:UNUSED_PAD src0_sel:WORD_1 src1_sel:DWORD
	v_add_nc_u32_e32 v12, 0xfffffc10, v12
	v_or_b32_e32 v15, 0x1000, v10
	v_med3_i32 v5, v5, 0, 13
	v_cndmask_b32_e64 v6, 0, 1, vcc_lo
	v_cmp_gt_i32_e32 vcc_lo, 31, v23
	v_fmac_f16_e32 v17, v95, v9
	v_mul_f16_sdwa v9, v95, v9 dst_sel:DWORD dst_unused:UNUSED_PAD src0_sel:WORD_1 src1_sel:DWORD
	v_lshrrev_b32_e32 v18, v5, v15
	v_lshl_or_b32 v6, v6, 9, 0x7c00
	v_cndmask_b32_e32 v4, 0x7c00, v4, vcc_lo
	v_and_or_b32 v2, 0x1ff, v3, v2
	v_cmp_eq_u32_e32 vcc_lo, 0x40f, v23
	v_lshlrev_b32_e32 v19, v5, v18
	v_bfe_u32 v20, v3, 20, 11
	v_fma_f16 v9, v95, v14, -v9
	v_cndmask_b32_e32 v6, v4, v6, vcc_lo
	v_cmp_ne_u32_e32 vcc_lo, 0, v2
	v_cvt_f32_f16_e32 v4, v17
	v_lshrrev_b32_e32 v17, 8, v3
	v_cvt_f32_f16_e32 v9, v9
	v_and_or_b32 v6, 0x8000, v7, v6
	v_cndmask_b32_e64 v2, 0, 1, vcc_lo
	v_cmp_ne_u32_e32 vcc_lo, v19, v15
	v_cvt_f64_f32_e32 v[4:5], v4
	v_and_b32_e32 v7, 0xffff, v8
	v_and_or_b32 v2, 0xffe, v17, v2
	v_cndmask_b32_e64 v15, 0, 1, vcc_lo
	v_sub_nc_u32_e32 v17, 0x3f1, v20
	v_cmp_gt_i32_e32 vcc_lo, 1, v12
	v_or_b32_e32 v19, 0x1000, v2
	v_or_b32_e32 v15, v18, v15
	v_lshl_or_b32 v18, v12, 12, v10
	v_med3_i32 v17, v17, 0, 13
	v_cndmask_b32_e32 v8, v18, v15, vcc_lo
	v_lshrrev_b32_e32 v15, v17, v19
	v_add_co_u32 v0, vcc_lo, v0, s3
	v_add_co_ci_u32_e32 v1, vcc_lo, s2, v1, vcc_lo
	v_lshlrev_b32_e32 v17, v17, v15
	v_and_b32_e32 v21, 7, v8
	v_mul_f64 v[4:5], v[4:5], s[4:5]
	v_lshl_or_b32 v18, v6, 16, v7
	v_add_co_u32 v6, vcc_lo, v0, s7
	v_cmp_ne_u32_e64 s0, v17, v19
	v_add_co_ci_u32_e32 v7, vcc_lo, s6, v1, vcc_lo
	v_cmp_lt_i32_e32 vcc_lo, 5, v21
	v_lshrrev_b32_e32 v19, 2, v8
	v_cndmask_b32_e64 v14, 0, 1, s0
	v_cmp_eq_u32_e64 s0, 3, v21
	v_add_nc_u32_e32 v17, 0xfffffc10, v20
	v_cvt_f64_f32_e32 v[8:9], v9
	global_store_dword v[0:1], v16, off
	global_store_dword v[6:7], v18, off
	v_or_b32_e32 v14, v15, v14
	s_or_b32 vcc_lo, s0, vcc_lo
	v_lshl_or_b32 v15, v17, 12, v2
	v_add_co_ci_u32_e32 v19, vcc_lo, 0, v19, vcc_lo
	v_cmp_ne_u32_e32 vcc_lo, 0, v10
	v_and_or_b32 v4, 0x1ff, v5, v4
	v_lshrrev_b32_e32 v20, 8, v5
	v_cndmask_b32_e64 v10, 0, 1, vcc_lo
	v_cmp_gt_i32_e32 vcc_lo, 1, v17
	v_bfe_u32 v21, v5, 20, 11
	v_lshl_or_b32 v10, v10, 9, 0x7c00
	v_cndmask_b32_e32 v14, v15, v14, vcc_lo
	v_cmp_gt_i32_e32 vcc_lo, 31, v12
	v_mul_f64 v[8:9], v[8:9], s[4:5]
	v_cndmask_b32_e32 v15, 0x7c00, v19, vcc_lo
	v_cmp_ne_u32_e32 vcc_lo, 0, v4
	v_and_b32_e32 v19, 7, v14
	v_lshrrev_b32_e32 v14, 2, v14
	v_cndmask_b32_e64 v4, 0, 1, vcc_lo
	v_cmp_eq_u32_e32 vcc_lo, 0x40f, v12
	v_cmp_eq_u32_e64 s0, 3, v19
	v_sub_nc_u32_e32 v12, 0x3f1, v21
	v_and_or_b32 v4, 0xffe, v20, v4
	v_cndmask_b32_e32 v10, v15, v10, vcc_lo
	v_cmp_lt_i32_e32 vcc_lo, 5, v19
	v_med3_i32 v12, v12, 0, 13
	v_lshrrev_b32_e32 v19, 16, v13
	v_or_b32_e32 v15, 0x1000, v4
	v_and_or_b32 v10, 0x8000, v11, v10
	s_or_b32 vcc_lo, s0, vcc_lo
	v_add_co_ci_u32_e32 v14, vcc_lo, 0, v14, vcc_lo
	v_cmp_ne_u32_e32 vcc_lo, 0, v2
	v_lshrrev_b32_e32 v20, v12, v15
	v_mul_f16_sdwa v22, v94, v19 dst_sel:DWORD dst_unused:UNUSED_PAD src0_sel:WORD_1 src1_sel:DWORD
	v_and_b32_e32 v10, 0xffff, v10
	v_cndmask_b32_e64 v2, 0, 1, vcc_lo
	v_cmp_gt_i32_e32 vcc_lo, 31, v17
	v_lshlrev_b32_e32 v11, v12, v20
	v_fmac_f16_e32 v22, v94, v13
	v_lshl_or_b32 v2, v2, 9, 0x7c00
	v_cndmask_b32_e32 v14, 0x7c00, v14, vcc_lo
	v_cmp_eq_u32_e32 vcc_lo, 0x40f, v17
	v_lshrrev_b32_e32 v17, 8, v9
	v_cndmask_b32_e32 v12, v14, v2, vcc_lo
	v_and_or_b32 v2, 0x1ff, v9, v8
	v_cmp_ne_u32_e32 vcc_lo, v11, v15
	v_lshrrev_b32_e32 v14, 16, v3
	v_cvt_f32_f16_e32 v3, v22
	v_add_nc_u32_e32 v15, 0xfffffc10, v21
	v_bfe_u32 v21, v9, 20, 11
	v_cndmask_b32_e64 v8, 0, 1, vcc_lo
	v_cmp_ne_u32_e32 vcc_lo, 0, v2
	v_cvt_f64_f32_e32 v[2:3], v3
	v_and_or_b32 v12, 0x8000, v14, v12
	v_lshl_or_b32 v14, v15, 12, v4
	v_or_b32_e32 v8, v20, v8
	v_cndmask_b32_e64 v11, 0, 1, vcc_lo
	v_cmp_gt_i32_e32 vcc_lo, 1, v15
	v_lshl_or_b32 v12, v12, 16, v10
	v_and_or_b32 v17, 0xffe, v17, v11
	v_sub_nc_u32_e32 v11, 0x3f1, v21
	v_cndmask_b32_e32 v8, v14, v8, vcc_lo
	v_add_co_u32 v0, vcc_lo, v6, s3
	v_or_b32_e32 v14, 0x1000, v17
	v_med3_i32 v11, v11, 0, 13
	v_and_b32_e32 v10, 7, v8
	v_add_co_ci_u32_e32 v1, vcc_lo, s2, v7, vcc_lo
	v_mul_f16_sdwa v7, v94, v13 dst_sel:DWORD dst_unused:UNUSED_PAD src0_sel:WORD_1 src1_sel:DWORD
	v_lshrrev_b32_e32 v16, v11, v14
	v_cmp_lt_i32_e32 vcc_lo, 5, v10
	v_mul_f64 v[2:3], v[2:3], s[4:5]
	v_cmp_eq_u32_e64 s0, 3, v10
	v_lshrrev_b32_e32 v8, 2, v8
	v_lshlrev_b32_e32 v6, v11, v16
	v_fma_f16 v7, v94, v19, -v7
	v_add_nc_u32_e32 v13, 0xfffffc10, v21
	s_or_b32 vcc_lo, s0, vcc_lo
	global_store_dword v[0:1], v12, off
	v_cmp_ne_u32_e64 s1, v6, v14
	v_add_co_ci_u32_e32 v8, vcc_lo, 0, v8, vcc_lo
	v_cmp_ne_u32_e32 vcc_lo, 0, v4
	v_lshl_or_b32 v11, v13, 12, v17
	v_cndmask_b32_e64 v6, 0, 1, s1
	v_add_nc_u32_e32 v14, 0x800, v89
	v_cndmask_b32_e64 v4, 0, 1, vcc_lo
	v_cmp_gt_i32_e32 vcc_lo, 1, v13
	v_or_b32_e32 v10, v16, v6
	v_cvt_f32_f16_e32 v6, v7
	v_lshl_or_b32 v4, v4, 9, 0x7c00
	v_and_or_b32 v2, 0x1ff, v3, v2
	v_cndmask_b32_e32 v16, v11, v10, vcc_lo
	v_cvt_f64_f32_e32 v[6:7], v6
	v_cmp_gt_i32_e32 vcc_lo, 31, v15
	ds_read2_b32 v[10:11], v14 offset0:118 offset1:181
	v_bfe_u32 v19, v3, 20, 11
	v_and_b32_e32 v14, 7, v16
	v_lshrrev_b32_e32 v18, 8, v3
	v_cndmask_b32_e32 v8, 0x7c00, v8, vcc_lo
	v_cmp_ne_u32_e32 vcc_lo, 0, v2
	v_cmp_eq_u32_e64 s0, 3, v14
	v_cndmask_b32_e64 v2, 0, 1, vcc_lo
	v_cmp_eq_u32_e32 vcc_lo, 0x40f, v15
	v_lshrrev_b32_e32 v15, 16, v5
	v_and_or_b32 v2, 0xffe, v18, v2
	v_cndmask_b32_e32 v8, v8, v4, vcc_lo
	v_sub_nc_u32_e32 v4, 0x3f1, v19
	v_cmp_lt_i32_e32 vcc_lo, 5, v14
	v_lshrrev_b32_e32 v14, 2, v16
	v_or_b32_e32 v16, 0x1000, v2
	s_waitcnt lgkmcnt(0)
	v_lshrrev_b32_e32 v20, 16, v10
	v_med3_i32 v18, v4, 0, 13
	v_mul_f64 v[4:5], v[6:7], s[4:5]
	s_or_b32 vcc_lo, s0, vcc_lo
	v_and_or_b32 v8, 0x8000, v15, v8
	v_add_co_ci_u32_e32 v6, vcc_lo, 0, v14, vcc_lo
	v_cmp_ne_u32_e32 vcc_lo, 0, v17
	v_lshrrev_b32_e32 v14, v18, v16
	v_mul_f16_sdwa v17, v93, v20 dst_sel:DWORD dst_unused:UNUSED_PAD src0_sel:WORD_1 src1_sel:DWORD
	v_and_b32_e32 v8, 0xffff, v8
	v_cndmask_b32_e64 v7, 0, 1, vcc_lo
	v_cmp_gt_i32_e32 vcc_lo, 31, v13
	v_lshlrev_b32_e32 v15, v18, v14
	v_fmac_f16_e32 v17, v93, v10
	v_mul_f16_sdwa v10, v93, v10 dst_sel:DWORD dst_unused:UNUSED_PAD src0_sel:WORD_1 src1_sel:DWORD
	v_lshl_or_b32 v7, v7, 9, 0x7c00
	v_cndmask_b32_e32 v6, 0x7c00, v6, vcc_lo
	v_cmp_eq_u32_e32 vcc_lo, 0x40f, v13
	v_fma_f16 v10, v93, v20, -v10
	v_cndmask_b32_e32 v6, v6, v7, vcc_lo
	v_cmp_ne_u32_e32 vcc_lo, v15, v16
	v_and_or_b32 v4, 0x1ff, v5, v4
	v_lshrrev_b32_e32 v7, 16, v9
	v_cvt_f32_f16_e32 v9, v17
	v_add_nc_u32_e32 v15, 0xfffffc10, v19
	v_cndmask_b32_e64 v13, 0, 1, vcc_lo
	v_cmp_ne_u32_e32 vcc_lo, 0, v4
	v_and_or_b32 v16, 0x8000, v7, v6
	v_cvt_f64_f32_e32 v[6:7], v9
	v_bfe_u32 v17, v5, 20, 11
	v_or_b32_e32 v9, v14, v13
	v_lshl_or_b32 v13, v15, 12, v2
	v_cndmask_b32_e64 v4, 0, 1, vcc_lo
	v_lshrrev_b32_e32 v14, 8, v5
	v_cmp_gt_i32_e32 vcc_lo, 1, v15
	v_lshl_or_b32 v8, v16, 16, v8
	v_cvt_f32_f16_e32 v10, v10
	v_lshrrev_b32_e32 v5, 16, v5
	v_and_or_b32 v4, 0xffe, v14, v4
	v_cndmask_b32_e32 v9, v13, v9, vcc_lo
	v_sub_nc_u32_e32 v13, 0x3f1, v17
	v_add_co_u32 v0, vcc_lo, v0, s7
	v_or_b32_e32 v14, 0x1000, v4
	v_and_b32_e32 v12, 7, v9
	v_med3_i32 v13, v13, 0, 13
	v_add_co_ci_u32_e32 v1, vcc_lo, s6, v1, vcc_lo
	v_add_nc_u32_e32 v17, 0xfffffc10, v17
	v_cmp_lt_i32_e32 vcc_lo, 5, v12
	v_lshrrev_b32_e32 v16, v13, v14
	v_cmp_eq_u32_e64 s0, 3, v12
	v_mul_f64 v[6:7], v[6:7], s[4:5]
	global_store_dword v[0:1], v8, off
	v_lshrrev_b32_e32 v8, 2, v9
	v_lshlrev_b32_e32 v9, v13, v16
	s_or_b32 vcc_lo, s0, vcc_lo
	v_cvt_f64_f32_e32 v[12:13], v10
	v_add_co_u32 v0, s1, v0, s3
	v_add_co_ci_u32_e32 v18, vcc_lo, 0, v8, vcc_lo
	v_cmp_ne_u32_e32 vcc_lo, v9, v14
	v_add_nc_u32_e32 v8, 0x1400, v89
	v_add_co_ci_u32_e64 v1, s1, s2, v1, s1
	v_cndmask_b32_e64 v14, 0, 1, vcc_lo
	v_cmp_ne_u32_e32 vcc_lo, 0, v2
	ds_read2_b32 v[8:9], v8 offset0:106 offset1:169
	v_or_b32_e32 v10, v16, v14
	v_cndmask_b32_e64 v2, 0, 1, vcc_lo
	v_cmp_gt_i32_e32 vcc_lo, 31, v15
	v_lshl_or_b32 v14, v17, 12, v4
	v_and_or_b32 v6, 0x1ff, v7, v6
	v_lshl_or_b32 v2, v2, 9, 0x7c00
	v_cndmask_b32_e32 v16, 0x7c00, v18, vcc_lo
	v_cmp_gt_i32_e32 vcc_lo, 1, v17
	v_bfe_u32 v18, v7, 20, 11
	v_cndmask_b32_e32 v10, v14, v10, vcc_lo
	v_cmp_ne_u32_e32 vcc_lo, 0, v6
	v_lshrrev_b32_e32 v14, 8, v7
	v_sub_nc_u32_e32 v19, 0x3f1, v18
	s_waitcnt lgkmcnt(0)
	v_lshrrev_b32_e32 v20, 16, v8
	v_add_nc_u32_e32 v18, 0xfffffc10, v18
	v_cndmask_b32_e64 v6, 0, 1, vcc_lo
	v_cmp_eq_u32_e32 vcc_lo, 0x40f, v15
	v_lshrrev_b32_e32 v7, 16, v7
	v_and_or_b32 v6, 0xffe, v14, v6
	v_cndmask_b32_e32 v15, v16, v2, vcc_lo
	v_and_b32_e32 v16, 7, v10
	v_lshrrev_b32_e32 v14, 16, v3
	v_mul_f64 v[2:3], v[12:13], s[4:5]
	v_lshrrev_b32_e32 v10, 2, v10
	v_or_b32_e32 v21, 0x1000, v6
	v_cmp_lt_i32_e32 vcc_lo, 5, v16
	v_cmp_eq_u32_e64 s0, 3, v16
	v_med3_i32 v12, v19, 0, 13
	v_mul_f16_sdwa v13, v92, v20 dst_sel:DWORD dst_unused:UNUSED_PAD src0_sel:WORD_1 src1_sel:DWORD
	v_and_or_b32 v14, 0x8000, v14, v15
	s_or_b32 vcc_lo, s0, vcc_lo
	v_lshrrev_b32_e32 v15, v12, v21
	v_add_co_ci_u32_e32 v10, vcc_lo, 0, v10, vcc_lo
	v_cmp_ne_u32_e32 vcc_lo, 0, v4
	v_fmac_f16_e32 v13, v92, v8
	v_lshlrev_b32_e32 v16, v12, v15
	v_and_b32_e32 v14, 0xffff, v14
	v_mul_f16_sdwa v8, v92, v8 dst_sel:DWORD dst_unused:UNUSED_PAD src0_sel:WORD_1 src1_sel:DWORD
	v_cndmask_b32_e64 v4, 0, 1, vcc_lo
	v_cmp_gt_i32_e32 vcc_lo, 31, v17
	v_cvt_f32_f16_e32 v13, v13
	v_and_or_b32 v2, 0x1ff, v3, v2
	v_lshl_or_b32 v4, v4, 9, 0x7c00
	v_cndmask_b32_e32 v10, 0x7c00, v10, vcc_lo
	v_cmp_ne_u32_e32 vcc_lo, v16, v21
	v_cvt_f64_f32_e32 v[12:13], v13
	v_fma_f16 v8, v92, v20, -v8
	v_cndmask_b32_e64 v16, 0, 1, vcc_lo
	v_cmp_eq_u32_e32 vcc_lo, 0x40f, v17
	v_bfe_u32 v17, v3, 20, 11
	v_cvt_f32_f16_e32 v8, v8
	v_cndmask_b32_e32 v4, v10, v4, vcc_lo
	v_cmp_ne_u32_e32 vcc_lo, 0, v2
	v_or_b32_e32 v10, v15, v16
	v_lshrrev_b32_e32 v16, 8, v3
	v_lshl_or_b32 v15, v18, 12, v6
	v_cndmask_b32_e64 v2, 0, 1, vcc_lo
	v_cmp_gt_i32_e32 vcc_lo, 1, v18
	v_and_or_b32 v2, 0xffe, v16, v2
	v_sub_nc_u32_e32 v16, 0x3f1, v17
	v_cndmask_b32_e32 v10, v15, v10, vcc_lo
	v_and_or_b32 v15, 0x8000, v5, v4
	v_mul_f64 v[4:5], v[12:13], s[4:5]
	v_or_b32_e32 v21, 0x1000, v2
	v_med3_i32 v12, v16, 0, 13
	v_and_b32_e32 v19, 7, v10
	v_lshl_or_b32 v14, v15, 16, v14
	v_lshrrev_b32_e32 v10, 2, v10
	v_lshrrev_b32_e32 v15, v12, v21
	v_cmp_lt_i32_e32 vcc_lo, 5, v19
	v_cmp_eq_u32_e64 s0, 3, v19
	v_lshlrev_b32_e32 v12, v12, v15
	s_or_b32 vcc_lo, s0, vcc_lo
	v_add_co_ci_u32_e32 v10, vcc_lo, 0, v10, vcc_lo
	v_cmp_ne_u32_e32 vcc_lo, v12, v21
	v_cvt_f64_f32_e32 v[12:13], v8
	v_add_nc_u32_e32 v8, 0xfffffc10, v17
	v_and_or_b32 v4, 0x1ff, v5, v4
	v_cndmask_b32_e64 v16, 0, 1, vcc_lo
	v_cmp_gt_i32_e32 vcc_lo, 31, v18
	v_lshrrev_b32_e32 v17, 8, v5
	v_bfe_u32 v19, v5, 20, 11
	v_or_b32_e32 v15, v15, v16
	v_cndmask_b32_e32 v10, 0x7c00, v10, vcc_lo
	v_cmp_ne_u32_e32 vcc_lo, 0, v4
	v_lshl_or_b32 v16, v8, 12, v2
	v_cndmask_b32_e64 v4, 0, 1, vcc_lo
	v_cmp_ne_u32_e32 vcc_lo, 0, v6
	v_and_or_b32 v4, 0xffe, v17, v4
	v_cndmask_b32_e64 v6, 0, 1, vcc_lo
	v_cmp_gt_i32_e32 vcc_lo, 1, v8
	v_lshrrev_b32_e32 v17, 16, v11
	v_mul_f64 v[12:13], v[12:13], s[4:5]
	v_or_b32_e32 v21, 0x1000, v4
	v_lshl_or_b32 v6, v6, 9, 0x7c00
	v_cndmask_b32_e32 v15, v16, v15, vcc_lo
	v_sub_nc_u32_e32 v16, 0x3f1, v19
	v_cmp_eq_u32_e32 vcc_lo, 0x40f, v18
	v_mul_f16_sdwa v22, v91, v17 dst_sel:DWORD dst_unused:UNUSED_PAD src0_sel:WORD_1 src1_sel:DWORD
	v_add_nc_u32_e32 v19, 0xfffffc10, v19
	v_and_b32_e32 v20, 7, v15
	v_med3_i32 v16, v16, 0, 13
	v_cndmask_b32_e32 v6, v10, v6, vcc_lo
	v_fmac_f16_e32 v22, v91, v11
	v_cmp_lt_i32_e32 vcc_lo, 5, v20
	v_lshrrev_b32_e32 v10, v16, v21
	v_cmp_eq_u32_e64 s0, 3, v20
	v_and_or_b32 v18, 0x8000, v7, v6
	v_lshrrev_b32_e32 v6, 2, v15
	v_cvt_f32_f16_e32 v15, v22
	v_lshlrev_b32_e32 v7, v16, v10
	s_or_b32 vcc_lo, s0, vcc_lo
	v_add_co_ci_u32_e32 v16, vcc_lo, 0, v6, vcc_lo
	v_cmp_ne_u32_e32 vcc_lo, v7, v21
	v_cvt_f64_f32_e32 v[6:7], v15
	v_lshl_or_b32 v15, v19, 12, v4
	v_and_or_b32 v12, 0x1ff, v13, v12
	v_cndmask_b32_e64 v20, 0, 1, vcc_lo
	v_cmp_ne_u32_e32 vcc_lo, 0, v2
	v_or_b32_e32 v10, v10, v20
	v_cndmask_b32_e64 v2, 0, 1, vcc_lo
	v_cmp_gt_i32_e32 vcc_lo, 31, v8
	v_bfe_u32 v20, v13, 20, 11
	v_lshl_or_b32 v2, v2, 9, 0x7c00
	v_cndmask_b32_e32 v16, 0x7c00, v16, vcc_lo
	v_cmp_gt_i32_e32 vcc_lo, 1, v19
	v_cndmask_b32_e32 v10, v15, v10, vcc_lo
	v_cmp_ne_u32_e32 vcc_lo, 0, v12
	v_lshrrev_b32_e32 v15, 8, v13
	v_lshrrev_b32_e32 v13, 16, v13
	v_and_b32_e32 v21, 7, v10
	v_cndmask_b32_e64 v12, 0, 1, vcc_lo
	v_cmp_eq_u32_e32 vcc_lo, 0x40f, v8
	v_lshrrev_b32_e32 v10, 2, v10
	v_cmp_eq_u32_e64 s0, 3, v21
	v_and_or_b32 v12, 0xffe, v15, v12
	v_sub_nc_u32_e32 v15, 0x3f1, v20
	v_cndmask_b32_e32 v8, v16, v2, vcc_lo
	v_cmp_lt_i32_e32 vcc_lo, 5, v21
	v_lshrrev_b32_e32 v16, 16, v3
	v_mul_f64 v[2:3], v[6:7], s[4:5]
	v_or_b32_e32 v6, 0x1000, v12
	v_med3_i32 v7, v15, 0, 13
	s_or_b32 vcc_lo, s0, vcc_lo
	v_and_or_b32 v8, 0x8000, v16, v8
	v_add_co_ci_u32_e32 v10, vcc_lo, 0, v10, vcc_lo
	v_lshrrev_b32_e32 v16, v7, v6
	v_cmp_ne_u32_e32 vcc_lo, 0, v4
	v_and_b32_e32 v15, 0xffff, v18
	v_add_nc_u32_e32 v18, 0xfffffc10, v20
	v_lshlrev_b32_e32 v7, v7, v16
	v_cndmask_b32_e64 v4, 0, 1, vcc_lo
	v_cmp_gt_i32_e32 vcc_lo, 31, v19
	v_lshl_or_b32 v15, v8, 16, v15
	v_lshl_or_b32 v4, v4, 9, 0x7c00
	v_cndmask_b32_e32 v8, 0x7c00, v10, vcc_lo
	v_cmp_ne_u32_e32 vcc_lo, v7, v6
	v_mul_f16_sdwa v10, v91, v11 dst_sel:DWORD dst_unused:UNUSED_PAD src0_sel:WORD_1 src1_sel:DWORD
	v_and_or_b32 v2, 0x1ff, v3, v2
	v_lshrrev_b32_e32 v11, 8, v3
	v_cndmask_b32_e64 v6, 0, 1, vcc_lo
	v_cmp_eq_u32_e32 vcc_lo, 0x40f, v19
	v_fma_f16 v7, v91, v17, -v10
	v_lshl_or_b32 v10, v18, 12, v12
	v_lshrrev_b32_e32 v17, 16, v9
	v_cndmask_b32_e32 v8, v8, v4, vcc_lo
	v_cmp_ne_u32_e32 vcc_lo, 0, v2
	v_or_b32_e32 v4, v16, v6
	v_cvt_f32_f16_e32 v6, v7
	v_bfe_u32 v16, v3, 20, 11
	v_mul_f16_sdwa v22, v90, v17 dst_sel:DWORD dst_unused:UNUSED_PAD src0_sel:WORD_1 src1_sel:DWORD
	v_cndmask_b32_e64 v2, 0, 1, vcc_lo
	v_cmp_gt_i32_e32 vcc_lo, 1, v18
	v_cvt_f64_f32_e32 v[6:7], v6
	v_lshrrev_b32_e32 v3, 16, v3
	v_fmac_f16_e32 v22, v90, v9
	v_and_or_b32 v2, 0xffe, v11, v2
	v_cndmask_b32_e32 v10, v10, v4, vcc_lo
	v_sub_nc_u32_e32 v4, 0x3f1, v16
	v_lshrrev_b32_e32 v11, 16, v5
	v_add_nc_u32_e32 v16, 0xfffffc10, v16
	v_or_b32_e32 v20, 0x1000, v2
	v_and_b32_e32 v19, 7, v10
	v_med3_i32 v21, v4, 0, 13
	v_add_co_u32 v4, vcc_lo, v0, s7
	v_and_or_b32 v23, 0x8000, v11, v8
	v_add_co_ci_u32_e32 v5, vcc_lo, s6, v1, vcc_lo
	v_lshrrev_b32_e32 v8, v21, v20
	v_cmp_lt_i32_e32 vcc_lo, 5, v19
	v_cmp_eq_u32_e64 s0, 3, v19
	v_lshrrev_b32_e32 v10, 2, v10
	v_cvt_f32_f16_e32 v11, v22
	v_lshlrev_b32_e32 v19, v21, v8
	v_mul_f64 v[6:7], v[6:7], s[4:5]
	s_or_b32 vcc_lo, s0, vcc_lo
	v_mul_f16_sdwa v9, v90, v9 dst_sel:DWORD dst_unused:UNUSED_PAD src0_sel:WORD_1 src1_sel:DWORD
	v_add_co_ci_u32_e32 v21, vcc_lo, 0, v10, vcc_lo
	v_cmp_ne_u32_e32 vcc_lo, v19, v20
	v_cvt_f64_f32_e32 v[10:11], v11
	v_fma_f16 v9, v90, v17, -v9
	v_cndmask_b32_e64 v19, 0, 1, vcc_lo
	v_cmp_ne_u32_e32 vcc_lo, 0, v12
	v_or_b32_e32 v8, v8, v19
	v_cndmask_b32_e64 v12, 0, 1, vcc_lo
	v_cmp_gt_i32_e32 vcc_lo, 31, v18
	v_lshl_or_b32 v19, v16, 12, v2
	v_lshl_or_b32 v12, v12, 9, 0x7c00
	v_cndmask_b32_e32 v17, 0x7c00, v21, vcc_lo
	v_cmp_gt_i32_e32 vcc_lo, 1, v16
	v_and_or_b32 v6, 0x1ff, v7, v6
	v_bfe_u32 v20, v7, 20, 11
	v_cndmask_b32_e32 v19, v19, v8, vcc_lo
	v_cvt_f32_f16_e32 v8, v9
	v_cmp_eq_u32_e32 vcc_lo, 0x40f, v18
	v_mul_f64 v[10:11], v[10:11], s[4:5]
	v_lshrrev_b32_e32 v18, 8, v7
	v_lshrrev_b32_e32 v7, 16, v7
	v_cvt_f64_f32_e32 v[8:9], v8
	v_cndmask_b32_e32 v12, v17, v12, vcc_lo
	v_cmp_ne_u32_e32 vcc_lo, 0, v6
	v_and_b32_e32 v17, 7, v19
	v_and_or_b32 v12, 0x8000, v13, v12
	v_and_b32_e32 v13, 0xffff, v23
	v_cndmask_b32_e64 v6, 0, 1, vcc_lo
	v_cmp_lt_i32_e32 vcc_lo, 5, v17
	v_cmp_eq_u32_e64 s0, 3, v17
	v_lshl_or_b32 v12, v12, 16, v13
	v_lshrrev_b32_e32 v13, 2, v19
	v_and_or_b32 v6, 0xffe, v18, v6
	v_sub_nc_u32_e32 v18, 0x3f1, v20
	s_or_b32 vcc_lo, s0, vcc_lo
	v_add_co_ci_u32_e32 v13, vcc_lo, 0, v13, vcc_lo
	v_or_b32_e32 v17, 0x1000, v6
	v_med3_i32 v18, v18, 0, 13
	v_cmp_ne_u32_e32 vcc_lo, 0, v2
	v_and_or_b32 v10, 0x1ff, v11, v10
	v_mul_f64 v[8:9], v[8:9], s[4:5]
	v_lshrrev_b32_e32 v21, 8, v11
	v_lshrrev_b32_e32 v19, v18, v17
	v_cndmask_b32_e64 v2, 0, 1, vcc_lo
	v_cmp_gt_i32_e32 vcc_lo, 31, v16
	v_bfe_u32 v22, v11, 20, 11
	v_lshrrev_b32_e32 v11, 16, v11
	v_lshlrev_b32_e32 v18, v18, v19
	v_lshl_or_b32 v2, v2, 9, 0x7c00
	v_cndmask_b32_e32 v13, 0x7c00, v13, vcc_lo
	v_cmp_ne_u32_e32 vcc_lo, 0, v10
	v_cndmask_b32_e64 v10, 0, 1, vcc_lo
	v_cmp_ne_u32_e32 vcc_lo, v18, v17
	v_add_nc_u32_e32 v18, 0xfffffc10, v20
	v_sub_nc_u32_e32 v20, 0x3f1, v22
	v_and_or_b32 v10, 0xffe, v21, v10
	v_cndmask_b32_e64 v17, 0, 1, vcc_lo
	v_cmp_eq_u32_e32 vcc_lo, 0x40f, v16
	v_lshl_or_b32 v16, v18, 12, v6
	v_and_or_b32 v8, 0x1ff, v9, v8
	v_bfe_u32 v21, v9, 20, 11
	v_cndmask_b32_e32 v2, v13, v2, vcc_lo
	v_or_b32_e32 v13, v19, v17
	v_or_b32_e32 v17, 0x1000, v10
	v_med3_i32 v19, v20, 0, 13
	v_cmp_gt_i32_e32 vcc_lo, 1, v18
	v_lshrrev_b32_e32 v20, 8, v9
	v_and_or_b32 v2, 0x8000, v3, v2
	v_lshrrev_b32_e32 v9, 16, v9
	v_cndmask_b32_e32 v13, v16, v13, vcc_lo
	v_lshrrev_b32_e32 v16, v19, v17
	v_cmp_ne_u32_e32 vcc_lo, 0, v8
	v_and_b32_e32 v23, 7, v13
	v_lshlrev_b32_e32 v19, v19, v16
	v_cndmask_b32_e64 v8, 0, 1, vcc_lo
	v_lshrrev_b32_e32 v13, 2, v13
	v_cmp_lt_i32_e32 vcc_lo, 5, v23
	v_cmp_ne_u32_e64 s0, v19, v17
	v_and_or_b32 v3, 0xffe, v20, v8
	v_sub_nc_u32_e32 v8, 0x3f1, v21
	v_add_nc_u32_e32 v20, 0xfffffc10, v22
	v_cndmask_b32_e64 v17, 0, 1, s0
	v_cmp_eq_u32_e64 s0, 3, v23
	v_or_b32_e32 v19, 0x1000, v3
	v_med3_i32 v8, v8, 0, 13
	v_lshl_or_b32 v22, v20, 12, v10
	v_or_b32_e32 v16, v16, v17
	s_or_b32 vcc_lo, s0, vcc_lo
	v_add_co_ci_u32_e32 v13, vcc_lo, 0, v13, vcc_lo
	v_lshrrev_b32_e32 v17, v8, v19
	v_cmp_gt_i32_e32 vcc_lo, 1, v20
	v_lshlrev_b32_e32 v8, v8, v17
	v_cndmask_b32_e32 v16, v22, v16, vcc_lo
	v_cmp_ne_u32_e32 vcc_lo, 0, v6
	v_cndmask_b32_e64 v6, 0, 1, vcc_lo
	v_cmp_ne_u32_e32 vcc_lo, v8, v19
	v_add_nc_u32_e32 v19, 0xfffffc10, v21
	v_and_b32_e32 v21, 7, v16
	v_lshl_or_b32 v6, v6, 9, 0x7c00
	v_cndmask_b32_e64 v8, 0, 1, vcc_lo
	v_cmp_gt_i32_e32 vcc_lo, 31, v18
	v_cmp_gt_i32_e64 s1, 1, v19
	v_cmp_eq_u32_e64 s0, 3, v21
	v_or_b32_e32 v8, v17, v8
	v_lshl_or_b32 v17, v19, 12, v3
	v_cndmask_b32_e32 v13, 0x7c00, v13, vcc_lo
	v_cmp_lt_i32_e32 vcc_lo, 5, v21
	v_cndmask_b32_e64 v8, v17, v8, s1
	v_cmp_eq_u32_e64 s1, 0x40f, v18
	s_or_b32 vcc_lo, s0, vcc_lo
	v_cndmask_b32_e64 v6, v13, v6, s1
	v_lshrrev_b32_e32 v13, 2, v16
	v_and_b32_e32 v16, 7, v8
	v_lshrrev_b32_e32 v8, 2, v8
	v_cmp_gt_i32_e64 s1, 31, v20
	v_and_or_b32 v6, 0x8000, v7, v6
	v_add_co_ci_u32_e32 v13, vcc_lo, 0, v13, vcc_lo
	v_cmp_ne_u32_e32 vcc_lo, 0, v10
	v_cmp_eq_u32_e64 s0, 3, v16
	v_and_b32_e32 v7, 0xffff, v2
	v_cndmask_b32_e64 v13, 0x7c00, v13, s1
	v_cndmask_b32_e64 v10, 0, 1, vcc_lo
	v_cmp_lt_i32_e32 vcc_lo, 5, v16
	v_lshl_or_b32 v10, v10, 9, 0x7c00
	s_or_b32 vcc_lo, s0, vcc_lo
	v_add_co_ci_u32_e32 v8, vcc_lo, 0, v8, vcc_lo
	v_cmp_ne_u32_e32 vcc_lo, 0, v3
	v_cndmask_b32_e64 v3, 0, 1, vcc_lo
	v_cmp_eq_u32_e32 vcc_lo, 0x40f, v20
	v_lshl_or_b32 v3, v3, 9, 0x7c00
	v_cndmask_b32_e32 v10, v13, v10, vcc_lo
	v_cmp_gt_i32_e32 vcc_lo, 31, v19
	v_and_or_b32 v10, 0x8000, v11, v10
	v_cndmask_b32_e32 v8, 0x7c00, v8, vcc_lo
	v_cmp_eq_u32_e32 vcc_lo, 0x40f, v19
	v_lshl_or_b32 v11, v6, 16, v7
	v_cndmask_b32_e32 v8, v8, v3, vcc_lo
	v_add_co_u32 v2, vcc_lo, v4, s3
	v_add_co_ci_u32_e32 v3, vcc_lo, s2, v5, vcc_lo
	v_and_or_b32 v8, 0x8000, v9, v8
	v_and_b32_e32 v9, 0xffff, v10
	v_add_co_u32 v6, vcc_lo, v2, s7
	v_add_co_ci_u32_e32 v7, vcc_lo, s6, v3, vcc_lo
	v_lshl_or_b32 v10, v8, 16, v9
	v_add_co_u32 v8, vcc_lo, v6, s3
	v_add_co_ci_u32_e32 v9, vcc_lo, s2, v7, vcc_lo
	global_store_dword v[0:1], v14, off
	global_store_dword v[4:5], v15, off
	;; [unrolled: 1-line block ×5, first 2 shown]
.LBB0_10:
	s_endpgm
	.section	.rodata,"a",@progbits
	.p2align	6, 0x0
	.amdhsa_kernel bluestein_single_fwd_len1512_dim1_half_op_CI_CI
		.amdhsa_group_segment_fixed_size 6048
		.amdhsa_private_segment_fixed_size 0
		.amdhsa_kernarg_size 104
		.amdhsa_user_sgpr_count 6
		.amdhsa_user_sgpr_private_segment_buffer 1
		.amdhsa_user_sgpr_dispatch_ptr 0
		.amdhsa_user_sgpr_queue_ptr 0
		.amdhsa_user_sgpr_kernarg_segment_ptr 1
		.amdhsa_user_sgpr_dispatch_id 0
		.amdhsa_user_sgpr_flat_scratch_init 0
		.amdhsa_user_sgpr_private_segment_size 0
		.amdhsa_wavefront_size32 1
		.amdhsa_uses_dynamic_stack 0
		.amdhsa_system_sgpr_private_segment_wavefront_offset 0
		.amdhsa_system_sgpr_workgroup_id_x 1
		.amdhsa_system_sgpr_workgroup_id_y 0
		.amdhsa_system_sgpr_workgroup_id_z 0
		.amdhsa_system_sgpr_workgroup_info 0
		.amdhsa_system_vgpr_workitem_id 0
		.amdhsa_next_free_vgpr 252
		.amdhsa_next_free_sgpr 20
		.amdhsa_reserve_vcc 1
		.amdhsa_reserve_flat_scratch 0
		.amdhsa_float_round_mode_32 0
		.amdhsa_float_round_mode_16_64 0
		.amdhsa_float_denorm_mode_32 3
		.amdhsa_float_denorm_mode_16_64 3
		.amdhsa_dx10_clamp 1
		.amdhsa_ieee_mode 1
		.amdhsa_fp16_overflow 0
		.amdhsa_workgroup_processor_mode 1
		.amdhsa_memory_ordered 1
		.amdhsa_forward_progress 0
		.amdhsa_shared_vgpr_count 0
		.amdhsa_exception_fp_ieee_invalid_op 0
		.amdhsa_exception_fp_denorm_src 0
		.amdhsa_exception_fp_ieee_div_zero 0
		.amdhsa_exception_fp_ieee_overflow 0
		.amdhsa_exception_fp_ieee_underflow 0
		.amdhsa_exception_fp_ieee_inexact 0
		.amdhsa_exception_int_div_zero 0
	.end_amdhsa_kernel
	.text
.Lfunc_end0:
	.size	bluestein_single_fwd_len1512_dim1_half_op_CI_CI, .Lfunc_end0-bluestein_single_fwd_len1512_dim1_half_op_CI_CI
                                        ; -- End function
	.section	.AMDGPU.csdata,"",@progbits
; Kernel info:
; codeLenInByte = 41256
; NumSgprs: 22
; NumVgprs: 252
; ScratchSize: 0
; MemoryBound: 0
; FloatMode: 240
; IeeeMode: 1
; LDSByteSize: 6048 bytes/workgroup (compile time only)
; SGPRBlocks: 2
; VGPRBlocks: 31
; NumSGPRsForWavesPerEU: 22
; NumVGPRsForWavesPerEU: 252
; Occupancy: 4
; WaveLimiterHint : 1
; COMPUTE_PGM_RSRC2:SCRATCH_EN: 0
; COMPUTE_PGM_RSRC2:USER_SGPR: 6
; COMPUTE_PGM_RSRC2:TRAP_HANDLER: 0
; COMPUTE_PGM_RSRC2:TGID_X_EN: 1
; COMPUTE_PGM_RSRC2:TGID_Y_EN: 0
; COMPUTE_PGM_RSRC2:TGID_Z_EN: 0
; COMPUTE_PGM_RSRC2:TIDIG_COMP_CNT: 0
	.text
	.p2alignl 6, 3214868480
	.fill 48, 4, 3214868480
	.type	__hip_cuid_be4f6504a955eeb,@object ; @__hip_cuid_be4f6504a955eeb
	.section	.bss,"aw",@nobits
	.globl	__hip_cuid_be4f6504a955eeb
__hip_cuid_be4f6504a955eeb:
	.byte	0                               ; 0x0
	.size	__hip_cuid_be4f6504a955eeb, 1

	.ident	"AMD clang version 19.0.0git (https://github.com/RadeonOpenCompute/llvm-project roc-6.4.0 25133 c7fe45cf4b819c5991fe208aaa96edf142730f1d)"
	.section	".note.GNU-stack","",@progbits
	.addrsig
	.addrsig_sym __hip_cuid_be4f6504a955eeb
	.amdgpu_metadata
---
amdhsa.kernels:
  - .args:
      - .actual_access:  read_only
        .address_space:  global
        .offset:         0
        .size:           8
        .value_kind:     global_buffer
      - .actual_access:  read_only
        .address_space:  global
        .offset:         8
        .size:           8
        .value_kind:     global_buffer
      - .actual_access:  read_only
        .address_space:  global
        .offset:         16
        .size:           8
        .value_kind:     global_buffer
      - .actual_access:  read_only
        .address_space:  global
        .offset:         24
        .size:           8
        .value_kind:     global_buffer
      - .actual_access:  read_only
        .address_space:  global
        .offset:         32
        .size:           8
        .value_kind:     global_buffer
      - .offset:         40
        .size:           8
        .value_kind:     by_value
      - .address_space:  global
        .offset:         48
        .size:           8
        .value_kind:     global_buffer
      - .address_space:  global
        .offset:         56
        .size:           8
        .value_kind:     global_buffer
      - .address_space:  global
        .offset:         64
        .size:           8
        .value_kind:     global_buffer
      - .address_space:  global
        .offset:         72
        .size:           8
        .value_kind:     global_buffer
      - .offset:         80
        .size:           4
        .value_kind:     by_value
      - .address_space:  global
        .offset:         88
        .size:           8
        .value_kind:     global_buffer
      - .address_space:  global
        .offset:         96
        .size:           8
        .value_kind:     global_buffer
    .group_segment_fixed_size: 6048
    .kernarg_segment_align: 8
    .kernarg_segment_size: 104
    .language:       OpenCL C
    .language_version:
      - 2
      - 0
    .max_flat_workgroup_size: 63
    .name:           bluestein_single_fwd_len1512_dim1_half_op_CI_CI
    .private_segment_fixed_size: 0
    .sgpr_count:     22
    .sgpr_spill_count: 0
    .symbol:         bluestein_single_fwd_len1512_dim1_half_op_CI_CI.kd
    .uniform_work_group_size: 1
    .uses_dynamic_stack: false
    .vgpr_count:     252
    .vgpr_spill_count: 0
    .wavefront_size: 32
    .workgroup_processor_mode: 1
amdhsa.target:   amdgcn-amd-amdhsa--gfx1030
amdhsa.version:
  - 1
  - 2
...

	.end_amdgpu_metadata
